;; amdgpu-corpus repo=ROCm/rocFFT kind=compiled arch=gfx1030 opt=O3
	.text
	.amdgcn_target "amdgcn-amd-amdhsa--gfx1030"
	.amdhsa_code_object_version 6
	.protected	fft_rtc_back_len1716_factors_13_2_6_11_wgs_156_tpt_156_dp_op_CI_CI_unitstride_sbrr_R2C_dirReg ; -- Begin function fft_rtc_back_len1716_factors_13_2_6_11_wgs_156_tpt_156_dp_op_CI_CI_unitstride_sbrr_R2C_dirReg
	.globl	fft_rtc_back_len1716_factors_13_2_6_11_wgs_156_tpt_156_dp_op_CI_CI_unitstride_sbrr_R2C_dirReg
	.p2align	8
	.type	fft_rtc_back_len1716_factors_13_2_6_11_wgs_156_tpt_156_dp_op_CI_CI_unitstride_sbrr_R2C_dirReg,@function
fft_rtc_back_len1716_factors_13_2_6_11_wgs_156_tpt_156_dp_op_CI_CI_unitstride_sbrr_R2C_dirReg: ; @fft_rtc_back_len1716_factors_13_2_6_11_wgs_156_tpt_156_dp_op_CI_CI_unitstride_sbrr_R2C_dirReg
; %bb.0:
	s_clause 0x2
	s_load_dwordx4 s[12:15], s[4:5], 0x0
	s_load_dwordx4 s[8:11], s[4:5], 0x58
	;; [unrolled: 1-line block ×3, first 2 shown]
	v_mul_u32_u24_e32 v1, 0x1a5, v0
	v_mov_b32_e32 v3, 0
	v_add_nc_u32_sdwa v5, s6, v1 dst_sel:DWORD dst_unused:UNUSED_PAD src0_sel:DWORD src1_sel:WORD_1
	v_mov_b32_e32 v1, 0
	v_mov_b32_e32 v6, v3
	v_mov_b32_e32 v2, 0
	s_waitcnt lgkmcnt(0)
	v_cmp_lt_u64_e64 s0, s[14:15], 2
	s_and_b32 vcc_lo, exec_lo, s0
	s_cbranch_vccnz .LBB0_8
; %bb.1:
	s_load_dwordx2 s[0:1], s[4:5], 0x10
	v_mov_b32_e32 v1, 0
	v_mov_b32_e32 v2, 0
	s_add_u32 s2, s18, 8
	s_addc_u32 s3, s19, 0
	s_add_u32 s6, s16, 8
	s_addc_u32 s7, s17, 0
	v_mov_b32_e32 v61, v2
	v_mov_b32_e32 v60, v1
	s_mov_b64 s[22:23], 1
	s_waitcnt lgkmcnt(0)
	s_add_u32 s20, s0, 8
	s_addc_u32 s21, s1, 0
.LBB0_2:                                ; =>This Inner Loop Header: Depth=1
	s_load_dwordx2 s[24:25], s[20:21], 0x0
                                        ; implicit-def: $vgpr64_vgpr65
	s_mov_b32 s0, exec_lo
	s_waitcnt lgkmcnt(0)
	v_or_b32_e32 v4, s25, v6
	v_cmpx_ne_u64_e32 0, v[3:4]
	s_xor_b32 s1, exec_lo, s0
	s_cbranch_execz .LBB0_4
; %bb.3:                                ;   in Loop: Header=BB0_2 Depth=1
	v_cvt_f32_u32_e32 v4, s24
	v_cvt_f32_u32_e32 v7, s25
	s_sub_u32 s0, 0, s24
	s_subb_u32 s26, 0, s25
	v_fmac_f32_e32 v4, 0x4f800000, v7
	v_rcp_f32_e32 v4, v4
	v_mul_f32_e32 v4, 0x5f7ffffc, v4
	v_mul_f32_e32 v7, 0x2f800000, v4
	v_trunc_f32_e32 v7, v7
	v_fmac_f32_e32 v4, 0xcf800000, v7
	v_cvt_u32_f32_e32 v7, v7
	v_cvt_u32_f32_e32 v4, v4
	v_mul_lo_u32 v8, s0, v7
	v_mul_hi_u32 v9, s0, v4
	v_mul_lo_u32 v10, s26, v4
	v_add_nc_u32_e32 v8, v9, v8
	v_mul_lo_u32 v9, s0, v4
	v_add_nc_u32_e32 v8, v8, v10
	v_mul_hi_u32 v10, v4, v9
	v_mul_lo_u32 v11, v4, v8
	v_mul_hi_u32 v12, v4, v8
	v_mul_hi_u32 v13, v7, v9
	v_mul_lo_u32 v9, v7, v9
	v_mul_hi_u32 v14, v7, v8
	v_mul_lo_u32 v8, v7, v8
	v_add_co_u32 v10, vcc_lo, v10, v11
	v_add_co_ci_u32_e32 v11, vcc_lo, 0, v12, vcc_lo
	v_add_co_u32 v9, vcc_lo, v10, v9
	v_add_co_ci_u32_e32 v9, vcc_lo, v11, v13, vcc_lo
	v_add_co_ci_u32_e32 v10, vcc_lo, 0, v14, vcc_lo
	v_add_co_u32 v8, vcc_lo, v9, v8
	v_add_co_ci_u32_e32 v9, vcc_lo, 0, v10, vcc_lo
	v_add_co_u32 v4, vcc_lo, v4, v8
	v_add_co_ci_u32_e32 v7, vcc_lo, v7, v9, vcc_lo
	v_mul_hi_u32 v8, s0, v4
	v_mul_lo_u32 v10, s26, v4
	v_mul_lo_u32 v9, s0, v7
	v_add_nc_u32_e32 v8, v8, v9
	v_mul_lo_u32 v9, s0, v4
	v_add_nc_u32_e32 v8, v8, v10
	v_mul_hi_u32 v10, v4, v9
	v_mul_lo_u32 v11, v4, v8
	v_mul_hi_u32 v12, v4, v8
	v_mul_hi_u32 v13, v7, v9
	v_mul_lo_u32 v9, v7, v9
	v_mul_hi_u32 v14, v7, v8
	v_mul_lo_u32 v8, v7, v8
	v_add_co_u32 v10, vcc_lo, v10, v11
	v_add_co_ci_u32_e32 v11, vcc_lo, 0, v12, vcc_lo
	v_add_co_u32 v9, vcc_lo, v10, v9
	v_add_co_ci_u32_e32 v9, vcc_lo, v11, v13, vcc_lo
	v_add_co_ci_u32_e32 v10, vcc_lo, 0, v14, vcc_lo
	v_add_co_u32 v8, vcc_lo, v9, v8
	v_add_co_ci_u32_e32 v9, vcc_lo, 0, v10, vcc_lo
	v_add_co_u32 v4, vcc_lo, v4, v8
	v_add_co_ci_u32_e32 v11, vcc_lo, v7, v9, vcc_lo
	v_mul_hi_u32 v13, v5, v4
	v_mad_u64_u32 v[9:10], null, v6, v4, 0
	v_mad_u64_u32 v[7:8], null, v5, v11, 0
	;; [unrolled: 1-line block ×3, first 2 shown]
	v_add_co_u32 v4, vcc_lo, v13, v7
	v_add_co_ci_u32_e32 v7, vcc_lo, 0, v8, vcc_lo
	v_add_co_u32 v4, vcc_lo, v4, v9
	v_add_co_ci_u32_e32 v4, vcc_lo, v7, v10, vcc_lo
	v_add_co_ci_u32_e32 v7, vcc_lo, 0, v12, vcc_lo
	v_add_co_u32 v4, vcc_lo, v4, v11
	v_add_co_ci_u32_e32 v9, vcc_lo, 0, v7, vcc_lo
	v_mul_lo_u32 v10, s25, v4
	v_mad_u64_u32 v[7:8], null, s24, v4, 0
	v_mul_lo_u32 v11, s24, v9
	v_sub_co_u32 v7, vcc_lo, v5, v7
	v_add3_u32 v8, v8, v11, v10
	v_sub_nc_u32_e32 v10, v6, v8
	v_subrev_co_ci_u32_e64 v10, s0, s25, v10, vcc_lo
	v_add_co_u32 v11, s0, v4, 2
	v_add_co_ci_u32_e64 v12, s0, 0, v9, s0
	v_sub_co_u32 v13, s0, v7, s24
	v_sub_co_ci_u32_e32 v8, vcc_lo, v6, v8, vcc_lo
	v_subrev_co_ci_u32_e64 v10, s0, 0, v10, s0
	v_cmp_le_u32_e32 vcc_lo, s24, v13
	v_cmp_eq_u32_e64 s0, s25, v8
	v_cndmask_b32_e64 v13, 0, -1, vcc_lo
	v_cmp_le_u32_e32 vcc_lo, s25, v10
	v_cndmask_b32_e64 v14, 0, -1, vcc_lo
	v_cmp_le_u32_e32 vcc_lo, s24, v7
	;; [unrolled: 2-line block ×3, first 2 shown]
	v_cndmask_b32_e64 v15, 0, -1, vcc_lo
	v_cmp_eq_u32_e32 vcc_lo, s25, v10
	v_cndmask_b32_e64 v7, v15, v7, s0
	v_cndmask_b32_e32 v10, v14, v13, vcc_lo
	v_add_co_u32 v13, vcc_lo, v4, 1
	v_add_co_ci_u32_e32 v14, vcc_lo, 0, v9, vcc_lo
	v_cmp_ne_u32_e32 vcc_lo, 0, v10
	v_cndmask_b32_e32 v8, v14, v12, vcc_lo
	v_cndmask_b32_e32 v10, v13, v11, vcc_lo
	v_cmp_ne_u32_e32 vcc_lo, 0, v7
	v_cndmask_b32_e32 v65, v9, v8, vcc_lo
	v_cndmask_b32_e32 v64, v4, v10, vcc_lo
.LBB0_4:                                ;   in Loop: Header=BB0_2 Depth=1
	s_andn2_saveexec_b32 s0, s1
	s_cbranch_execz .LBB0_6
; %bb.5:                                ;   in Loop: Header=BB0_2 Depth=1
	v_cvt_f32_u32_e32 v4, s24
	s_sub_i32 s1, 0, s24
	v_mov_b32_e32 v65, v3
	v_rcp_iflag_f32_e32 v4, v4
	v_mul_f32_e32 v4, 0x4f7ffffe, v4
	v_cvt_u32_f32_e32 v4, v4
	v_mul_lo_u32 v7, s1, v4
	v_mul_hi_u32 v7, v4, v7
	v_add_nc_u32_e32 v4, v4, v7
	v_mul_hi_u32 v4, v5, v4
	v_mul_lo_u32 v7, v4, s24
	v_add_nc_u32_e32 v8, 1, v4
	v_sub_nc_u32_e32 v7, v5, v7
	v_subrev_nc_u32_e32 v9, s24, v7
	v_cmp_le_u32_e32 vcc_lo, s24, v7
	v_cndmask_b32_e32 v7, v7, v9, vcc_lo
	v_cndmask_b32_e32 v4, v4, v8, vcc_lo
	v_cmp_le_u32_e32 vcc_lo, s24, v7
	v_add_nc_u32_e32 v8, 1, v4
	v_cndmask_b32_e32 v64, v4, v8, vcc_lo
.LBB0_6:                                ;   in Loop: Header=BB0_2 Depth=1
	s_or_b32 exec_lo, exec_lo, s0
	v_mul_lo_u32 v4, v65, s24
	v_mul_lo_u32 v9, v64, s25
	s_load_dwordx2 s[0:1], s[6:7], 0x0
	v_mad_u64_u32 v[7:8], null, v64, s24, 0
	s_load_dwordx2 s[24:25], s[2:3], 0x0
	s_add_u32 s22, s22, 1
	s_addc_u32 s23, s23, 0
	s_add_u32 s2, s2, 8
	s_addc_u32 s3, s3, 0
	s_add_u32 s6, s6, 8
	v_add3_u32 v4, v8, v9, v4
	v_sub_co_u32 v5, vcc_lo, v5, v7
	s_addc_u32 s7, s7, 0
	s_add_u32 s20, s20, 8
	v_sub_co_ci_u32_e32 v4, vcc_lo, v6, v4, vcc_lo
	s_addc_u32 s21, s21, 0
	s_waitcnt lgkmcnt(0)
	v_mul_lo_u32 v6, s0, v4
	v_mul_lo_u32 v7, s1, v5
	v_mad_u64_u32 v[1:2], null, s0, v5, v[1:2]
	v_mul_lo_u32 v4, s24, v4
	v_mul_lo_u32 v8, s25, v5
	v_mad_u64_u32 v[60:61], null, s24, v5, v[60:61]
	v_cmp_ge_u64_e64 s0, s[22:23], s[14:15]
	v_add3_u32 v2, v7, v2, v6
	v_add3_u32 v61, v8, v61, v4
	s_and_b32 vcc_lo, exec_lo, s0
	s_cbranch_vccnz .LBB0_9
; %bb.7:                                ;   in Loop: Header=BB0_2 Depth=1
	v_mov_b32_e32 v5, v64
	v_mov_b32_e32 v6, v65
	s_branch .LBB0_2
.LBB0_8:
	v_mov_b32_e32 v61, v2
	v_mov_b32_e32 v65, v6
	;; [unrolled: 1-line block ×4, first 2 shown]
.LBB0_9:
	s_load_dwordx2 s[0:1], s[4:5], 0x28
	v_mul_hi_u32 v3, 0x1a41a42, v0
	s_lshl_b64 s[4:5], s[14:15], 3
                                        ; implicit-def: $vgpr62
	s_add_u32 s2, s18, s4
	s_addc_u32 s3, s19, s5
	s_waitcnt lgkmcnt(0)
	v_cmp_gt_u64_e32 vcc_lo, s[0:1], v[64:65]
	v_cmp_le_u64_e64 s0, s[0:1], v[64:65]
	s_and_saveexec_b32 s1, s0
	s_xor_b32 s0, exec_lo, s1
; %bb.10:
	v_mul_u32_u24_e32 v1, 0x9c, v3
                                        ; implicit-def: $vgpr3
	v_sub_nc_u32_e32 v62, v0, v1
                                        ; implicit-def: $vgpr0
                                        ; implicit-def: $vgpr1_vgpr2
; %bb.11:
	s_andn2_saveexec_b32 s1, s0
	s_cbranch_execz .LBB0_13
; %bb.12:
	s_add_u32 s4, s16, s4
	s_addc_u32 s5, s17, s5
	v_lshlrev_b64 v[1:2], 4, v[1:2]
	s_load_dwordx2 s[4:5], s[4:5], 0x0
	s_waitcnt lgkmcnt(0)
	v_mul_lo_u32 v6, s5, v64
	v_mul_lo_u32 v7, s4, v65
	v_mad_u64_u32 v[4:5], null, s4, v64, 0
	v_add3_u32 v5, v5, v7, v6
	v_mul_u32_u24_e32 v6, 0x9c, v3
	v_lshlrev_b64 v[3:4], 4, v[4:5]
	v_sub_nc_u32_e32 v62, v0, v6
	v_lshlrev_b32_e32 v44, 4, v62
	v_add_co_u32 v0, s0, s8, v3
	v_add_co_ci_u32_e64 v3, s0, s9, v4, s0
	v_add_co_u32 v0, s0, v0, v1
	v_add_co_ci_u32_e64 v1, s0, v3, v2, s0
	;; [unrolled: 2-line block ×3, first 2 shown]
	v_add_nc_u32_e32 v44, 0, v44
	v_add_co_u32 v4, s0, 0x800, v24
	v_add_co_ci_u32_e64 v5, s0, 0, v25, s0
	v_add_co_u32 v8, s0, 0x1000, v24
	v_add_co_ci_u32_e64 v9, s0, 0, v25, s0
	;; [unrolled: 2-line block ×10, first 2 shown]
	s_clause 0xa
	global_load_dwordx4 v[0:3], v[24:25], off
	global_load_dwordx4 v[4:7], v[4:5], off offset:448
	global_load_dwordx4 v[8:11], v[8:9], off offset:896
	;; [unrolled: 1-line block ×10, first 2 shown]
	s_waitcnt vmcnt(10)
	ds_write_b128 v44, v[0:3]
	s_waitcnt vmcnt(9)
	ds_write_b128 v44, v[4:7] offset:2496
	s_waitcnt vmcnt(8)
	ds_write_b128 v44, v[8:11] offset:4992
	;; [unrolled: 2-line block ×10, first 2 shown]
.LBB0_13:
	s_or_b32 exec_lo, exec_lo, s1
	v_lshl_add_u32 v162, v62, 4, 0
	s_waitcnt lgkmcnt(0)
	s_barrier
	buffer_gl0_inv
	s_mov_b32 s4, 0x1ea71119
	ds_read_b128 v[8:11], v162 offset:25344
	ds_read_b128 v[36:39], v162 offset:2112
	;; [unrolled: 1-line block ×4, first 2 shown]
	ds_read_b128 v[20:23], v162
	s_mov_b32 s8, 0x42a4c3d2
	s_mov_b32 s14, 0xebaa3ed8
	;; [unrolled: 1-line block ×7, first 2 shown]
	ds_read_b128 v[40:43], v162 offset:6336
	ds_read_b128 v[16:19], v162 offset:21120
	s_mov_b32 s6, 0xb2365da1
	s_mov_b32 s24, 0x2ef20147
	;; [unrolled: 1-line block ×8, first 2 shown]
	s_waitcnt lgkmcnt(5)
	v_add_f64 v[134:135], v[38:39], -v[10:11]
	v_add_f64 v[70:71], v[38:39], v[10:11]
	s_waitcnt lgkmcnt(3)
	v_add_f64 v[68:69], v[34:35], -v[14:15]
	v_add_f64 v[66:67], v[34:35], v[14:15]
	v_add_f64 v[142:143], v[36:37], v[8:9]
	v_add_f64 v[156:157], v[36:37], -v[8:9]
	v_add_f64 v[84:85], v[32:33], v[12:13]
	v_add_f64 v[130:131], v[32:33], -v[12:13]
	ds_read_b128 v[24:27], v162 offset:19008
	ds_read_b128 v[56:59], v162 offset:8448
	s_mov_b32 s35, 0x3fedeba7
	s_waitcnt lgkmcnt(2)
	v_add_f64 v[90:91], v[42:43], -v[18:19]
	v_add_f64 v[78:79], v[42:43], v[18:19]
	s_mov_b32 s34, s24
	v_add_f64 v[86:87], v[40:41], v[16:17]
	v_add_f64 v[122:123], v[40:41], -v[16:17]
	ds_read_b128 v[52:55], v162 offset:10560
	ds_read_b128 v[28:31], v162 offset:16896
	s_mov_b32 s18, 0xd0032e0c
	s_mov_b32 s28, 0x24c2f84
	;; [unrolled: 1-line block ×5, first 2 shown]
	v_mul_f64 v[152:153], v[134:135], s[8:9]
	v_mul_f64 v[154:155], v[70:71], s[4:5]
	;; [unrolled: 1-line block ×8, first 2 shown]
	s_waitcnt lgkmcnt(2)
	v_add_f64 v[92:93], v[58:59], -v[26:27]
	v_add_f64 v[72:73], v[58:59], v[26:27]
	s_mov_b32 s27, 0x3fec55a7
	v_mul_f64 v[106:107], v[90:91], s[22:23]
	v_mul_f64 v[120:121], v[78:79], s[16:17]
	;; [unrolled: 1-line block ×4, first 2 shown]
	s_mov_b32 s39, 0x3fddbe06
	s_mov_b32 s38, 0x4267c47c
	v_add_f64 v[80:81], v[56:57], v[24:25]
	v_add_f64 v[128:129], v[56:57], -v[24:25]
	s_waitcnt lgkmcnt(0)
	v_add_f64 v[96:97], v[54:55], -v[30:31]
	v_add_f64 v[74:75], v[54:55], v[30:31]
	ds_read_b128 v[48:51], v162 offset:12672
	ds_read_b128 v[44:47], v162 offset:14784
	v_fma_f64 v[0:1], v[142:143], s[4:5], -v[152:153]
	v_fma_f64 v[2:3], v[156:157], s[8:9], v[154:155]
	v_fma_f64 v[4:5], v[142:143], s[14:15], -v[158:159]
	v_fma_f64 v[6:7], v[156:157], s[20:21], v[160:161]
	;; [unrolled: 2-line block ×4, first 2 shown]
	v_mul_f64 v[102:103], v[92:93], s[28:29]
	v_mul_f64 v[110:111], v[72:73], s[18:19]
	;; [unrolled: 1-line block ×4, first 2 shown]
	v_fma_f64 v[100:101], v[86:87], s[16:17], -v[106:107]
	v_fma_f64 v[108:109], v[122:123], s[22:23], v[120:121]
	v_fma_f64 v[114:115], v[86:87], s[6:7], -v[140:141]
	v_fma_f64 v[124:125], v[122:123], s[34:35], v[148:149]
	s_mov_b32 s37, 0x3fefc445
	s_mov_b32 s36, s20
	v_add_f64 v[132:133], v[52:53], -v[28:29]
	v_mul_f64 v[104:105], v[96:97], s[36:37]
	v_mul_f64 v[112:113], v[74:75], s[14:15]
	;; [unrolled: 1-line block ×3, first 2 shown]
	v_add_f64 v[0:1], v[20:21], v[0:1]
	v_add_f64 v[2:3], v[22:23], v[2:3]
	v_add_f64 v[4:5], v[20:21], v[4:5]
	v_add_f64 v[6:7], v[22:23], v[6:7]
	v_mul_f64 v[126:127], v[74:75], s[4:5]
	s_mov_b32 s31, 0xbfe5384d
	s_mov_b32 s30, s28
	s_waitcnt lgkmcnt(0)
	v_add_f64 v[136:137], v[48:49], -v[44:45]
	v_fma_f64 v[163:164], v[80:81], s[18:19], -v[102:103]
	v_fma_f64 v[165:166], v[128:129], s[28:29], v[110:111]
	v_fma_f64 v[167:168], v[80:81], s[26:27], -v[144:145]
	v_fma_f64 v[169:170], v[128:129], s[38:39], v[150:151]
	s_mov_b32 s33, exec_lo
	s_barrier
	buffer_gl0_inv
	v_fma_f64 v[173:174], v[132:133], s[36:37], v[112:113]
	v_add_f64 v[0:1], v[76:77], v[0:1]
	v_add_f64 v[2:3], v[82:83], v[2:3]
	;; [unrolled: 1-line block ×5, first 2 shown]
	v_add_f64 v[98:99], v[50:51], -v[46:47]
	v_add_f64 v[76:77], v[50:51], v[46:47]
	v_add_f64 v[88:89], v[48:49], v[44:45]
	v_fma_f64 v[177:178], v[132:133], s[8:9], v[126:127]
	v_add_f64 v[0:1], v[100:101], v[0:1]
	v_add_f64 v[2:3], v[108:109], v[2:3]
	;; [unrolled: 1-line block ×4, first 2 shown]
	v_fma_f64 v[171:172], v[82:83], s[14:15], -v[104:105]
	v_mul_f64 v[100:101], v[98:99], s[38:39]
	v_mul_f64 v[108:109], v[76:77], s[26:27]
	;; [unrolled: 1-line block ×4, first 2 shown]
	v_fma_f64 v[175:176], v[82:83], s[4:5], -v[118:119]
	v_add_f64 v[0:1], v[163:164], v[0:1]
	v_add_f64 v[2:3], v[165:166], v[2:3]
	;; [unrolled: 1-line block ×4, first 2 shown]
	v_fma_f64 v[163:164], v[88:89], s[26:27], -v[100:101]
	v_fma_f64 v[165:166], v[136:137], s[38:39], v[108:109]
	v_fma_f64 v[167:168], v[88:89], s[18:19], -v[114:115]
	v_fma_f64 v[169:170], v[136:137], s[30:31], v[124:125]
	v_add_f64 v[0:1], v[171:172], v[0:1]
	v_add_f64 v[2:3], v[173:174], v[2:3]
	;; [unrolled: 1-line block ×8, first 2 shown]
	v_cmpx_gt_u32_e32 0x84, v62
	s_cbranch_execz .LBB0_15
; %bb.14:
	v_add_f64 v[38:39], v[22:23], v[38:39]
	v_add_f64 v[36:37], v[20:21], v[36:37]
	v_mul_f64 v[169:170], v[156:157], s[22:23]
	v_mul_f64 v[171:172], v[134:135], s[22:23]
	;; [unrolled: 1-line block ×18, first 2 shown]
	s_mov_b32 s39, 0xbfddbe06
	s_mov_b32 s1, 0x3fea55e2
	v_add_f64 v[34:35], v[38:39], v[34:35]
	v_add_f64 v[32:33], v[36:37], v[32:33]
	v_fma_f64 v[219:220], v[70:71], s[16:17], v[169:170]
	v_fma_f64 v[221:222], v[142:143], s[16:17], -v[171:172]
	v_fma_f64 v[171:172], v[142:143], s[16:17], v[171:172]
	v_mul_f64 v[36:37], v[130:131], s[36:37]
	v_fma_f64 v[223:224], v[70:71], s[18:19], v[177:178]
	v_fma_f64 v[177:178], v[70:71], s[18:19], -v[177:178]
	v_add_f64 v[152:153], v[197:198], v[152:153]
	v_fma_f64 v[197:198], v[66:67], s[26:27], v[179:180]
	v_fma_f64 v[225:226], v[84:85], s[26:27], -v[183:184]
	v_mul_f64 v[38:39], v[68:69], s[36:37]
	v_add_f64 v[160:161], v[160:161], -v[167:168]
	v_fma_f64 v[167:168], v[142:143], s[18:19], -v[181:182]
	v_fma_f64 v[181:182], v[142:143], s[18:19], v[181:182]
	s_mov_b32 s0, s8
	v_mul_f64 v[163:164], v[156:157], s[8:9]
	v_mul_f64 v[193:194], v[134:135], s[24:25]
	;; [unrolled: 1-line block ×6, first 2 shown]
	v_add_f64 v[34:35], v[34:35], v[42:43]
	v_add_f64 v[32:33], v[32:33], v[40:41]
	v_fma_f64 v[42:43], v[70:71], s[16:17], -v[169:170]
	v_add_f64 v[219:220], v[22:23], v[219:220]
	v_add_f64 v[221:222], v[20:21], v[221:222]
	;; [unrolled: 1-line block ×3, first 2 shown]
	v_mul_f64 v[215:216], v[128:129], s[0:1]
	v_add_f64 v[158:159], v[165:166], v[158:159]
	v_fma_f64 v[165:166], v[70:71], s[6:7], v[189:190]
	v_fma_f64 v[227:228], v[78:79], s[18:19], v[199:200]
	v_fma_f64 v[199:200], v[78:79], s[18:19], -v[199:200]
	v_add_f64 v[177:178], v[22:23], v[177:178]
	v_mul_f64 v[217:218], v[92:93], s[0:1]
	v_fma_f64 v[229:230], v[86:87], s[18:19], -v[201:202]
	v_mul_f64 v[209:210], v[90:91], s[8:9]
	v_add_f64 v[223:224], v[22:23], v[223:224]
	s_mov_b32 s41, 0x3fcea1e5
	s_mov_b32 s40, s22
	v_mul_f64 v[203:204], v[132:133], s[24:25]
	v_mul_f64 v[40:41], v[128:129], s[40:41]
	v_add_f64 v[154:155], v[154:155], -v[163:164]
	v_fma_f64 v[163:164], v[142:143], s[6:7], -v[193:194]
	v_add_f64 v[34:35], v[34:35], v[58:59]
	v_add_f64 v[32:33], v[32:33], v[56:57]
	v_fma_f64 v[56:57], v[66:67], s[26:27], -v[179:180]
	v_add_f64 v[42:43], v[22:23], v[42:43]
	v_fma_f64 v[58:59], v[84:85], s[26:27], v[183:184]
	v_fma_f64 v[179:180], v[66:67], s[14:15], v[36:37]
	v_fma_f64 v[36:37], v[66:67], s[14:15], -v[36:37]
	v_add_f64 v[197:198], v[197:198], v[219:220]
	v_add_f64 v[219:220], v[225:226], v[221:222]
	v_fma_f64 v[183:184], v[84:85], s[14:15], -v[38:39]
	v_fma_f64 v[38:39], v[84:85], s[14:15], v[38:39]
	v_fma_f64 v[189:190], v[70:71], s[6:7], -v[189:190]
	v_fma_f64 v[193:194], v[142:143], s[6:7], v[193:194]
	v_fma_f64 v[201:202], v[86:87], s[18:19], v[201:202]
	;; [unrolled: 1-line block ×3, first 2 shown]
	v_fma_f64 v[205:206], v[78:79], s[4:5], -v[205:206]
	v_mul_f64 v[207:208], v[96:97], s[24:25]
	v_mul_f64 v[169:170], v[92:93], s[40:41]
	v_fma_f64 v[235:236], v[86:87], s[4:5], -v[209:210]
	v_fma_f64 v[209:210], v[86:87], s[4:5], v[209:210]
	v_mul_f64 v[213:214], v[68:69], s[28:29]
	v_fma_f64 v[221:222], v[72:73], s[16:17], v[40:41]
	v_add_f64 v[34:35], v[34:35], v[54:55]
	v_add_f64 v[32:33], v[32:33], v[52:53]
	v_fma_f64 v[52:53], v[66:67], s[18:19], v[211:212]
	v_add_f64 v[42:43], v[56:57], v[42:43]
	v_add_f64 v[58:59], v[58:59], v[171:172]
	;; [unrolled: 1-line block ×4, first 2 shown]
	v_fma_f64 v[167:168], v[66:67], s[18:19], -v[211:212]
	v_fma_f64 v[211:212], v[70:71], s[26:27], v[156:157]
	v_fma_f64 v[70:71], v[70:71], s[26:27], -v[156:157]
	v_fma_f64 v[156:157], v[142:143], s[26:27], -v[134:135]
	v_fma_f64 v[134:135], v[142:143], s[26:27], v[134:135]
	v_fma_f64 v[142:143], v[72:73], s[4:5], v[215:216]
	v_fma_f64 v[215:216], v[72:73], s[4:5], -v[215:216]
	v_add_f64 v[36:37], v[36:37], v[177:178]
	v_fma_f64 v[181:182], v[80:81], s[4:5], -v[217:218]
	v_add_f64 v[197:198], v[227:228], v[197:198]
	v_add_f64 v[219:220], v[229:230], v[219:220]
	;; [unrolled: 1-line block ×3, first 2 shown]
	v_fma_f64 v[217:218], v[80:81], s[4:5], v[217:218]
	v_mul_f64 v[177:178], v[130:131], s[22:23]
	v_fma_f64 v[40:41], v[72:73], s[16:17], -v[40:41]
	v_add_f64 v[34:35], v[34:35], v[50:51]
	v_add_f64 v[32:33], v[32:33], v[48:49]
	;; [unrolled: 1-line block ×23, first 2 shown]
	v_fma_f64 v[46:47], v[74:75], s[6:7], -v[203:204]
	v_add_f64 v[48:49], v[52:53], v[48:49]
	v_add_f64 v[42:43], v[215:216], v[42:43]
	v_fma_f64 v[52:53], v[78:79], s[26:27], v[191:192]
	v_add_f64 v[32:33], v[32:33], v[44:45]
	v_fma_f64 v[44:45], v[82:83], s[6:7], -v[207:208]
	v_fma_f64 v[179:180], v[80:81], s[16:17], -v[169:170]
	v_fma_f64 v[169:170], v[80:81], s[16:17], v[169:170]
	v_add_f64 v[38:39], v[209:210], v[38:39]
	v_fma_f64 v[54:55], v[84:85], s[18:19], -v[213:214]
	v_add_f64 v[58:59], v[217:218], v[58:59]
	v_fma_f64 v[181:182], v[82:83], s[6:7], v[207:208]
	v_mul_f64 v[183:184], v[128:129], s[20:21]
	v_add_f64 v[163:164], v[167:168], v[163:164]
	v_fma_f64 v[167:168], v[78:79], s[26:27], -v[191:192]
	v_fma_f64 v[191:192], v[74:75], s[26:27], v[185:186]
	v_add_f64 v[36:37], v[40:41], v[36:37]
	v_fma_f64 v[40:41], v[74:75], s[26:27], -v[185:186]
	v_mul_f64 v[185:186], v[130:131], s[24:25]
	v_mul_f64 v[130:131], v[130:131], s[8:9]
	;; [unrolled: 1-line block ×3, first 2 shown]
	v_add_f64 v[56:57], v[235:236], v[56:57]
	v_add_f64 v[20:21], v[221:222], v[20:21]
	v_fma_f64 v[233:234], v[74:75], s[6:7], v[203:204]
	v_add_f64 v[42:43], v[46:47], v[42:43]
	v_add_f64 v[46:47], v[146:147], -v[177:178]
	v_add_f64 v[48:49], v[52:53], v[48:49]
	v_mul_f64 v[52:53], v[84:85], s[6:7]
	v_add_f64 v[44:45], v[44:45], v[142:143]
	v_mul_f64 v[142:143], v[122:123], s[34:35]
	;; [unrolled: 2-line block ×3, first 2 shown]
	v_add_f64 v[50:51], v[54:55], v[50:51]
	v_fma_f64 v[54:55], v[86:87], s[26:27], -v[195:196]
	v_mul_f64 v[189:190], v[92:93], s[20:21]
	v_fma_f64 v[177:178], v[82:83], s[26:27], v[187:188]
	v_add_f64 v[58:59], v[181:182], v[58:59]
	v_fma_f64 v[181:182], v[72:73], s[14:15], -v[183:184]
	v_add_f64 v[163:164], v[167:168], v[163:164]
	v_mul_f64 v[167:168], v[136:137], s[36:37]
	v_add_f64 v[116:117], v[116:117], -v[185:186]
	v_add_f64 v[30:31], v[34:35], v[30:31]
	v_add_f64 v[28:29], v[32:33], v[28:29]
	v_fma_f64 v[32:33], v[66:67], s[4:5], -v[130:131]
	v_mul_f64 v[34:35], v[122:123], s[20:21]
	v_mul_f64 v[90:91], v[90:91], s[20:21]
	v_add_f64 v[56:57], v[179:180], v[56:57]
	v_add_f64 v[46:47], v[46:47], v[160:161]
	v_mul_f64 v[160:161], v[122:123], s[22:23]
	v_add_f64 v[52:53], v[52:53], v[94:95]
	v_fma_f64 v[94:95], v[84:85], s[4:5], v[68:69]
	v_add_f64 v[142:143], v[148:149], -v[142:143]
	v_mul_f64 v[148:149], v[86:87], s[16:17]
	v_fma_f64 v[146:147], v[82:83], s[26:27], -v[187:188]
	v_add_f64 v[36:37], v[40:41], v[36:37]
	v_mul_f64 v[40:41], v[86:87], s[6:7]
	v_add_f64 v[138:139], v[169:170], v[138:139]
	v_fma_f64 v[179:180], v[72:73], s[14:15], v[183:184]
	v_add_f64 v[183:184], v[191:192], v[20:21]
	v_fma_f64 v[20:21], v[84:85], s[18:19], v[213:214]
	v_add_f64 v[150:151], v[150:151], -v[173:174]
	v_mul_f64 v[173:174], v[98:99], s[36:37]
	v_fma_f64 v[66:67], v[66:67], s[4:5], v[130:131]
	v_fma_f64 v[68:69], v[84:85], s[4:5], -v[68:69]
	v_add_f64 v[134:135], v[233:234], v[134:135]
	v_add_f64 v[50:51], v[54:55], v[50:51]
	v_fma_f64 v[54:55], v[80:81], s[14:15], -v[189:190]
	v_add_f64 v[177:178], v[177:178], v[38:39]
	v_mul_f64 v[38:39], v[80:81], s[18:19]
	v_mul_f64 v[169:170], v[128:129], s[28:29]
	v_add_f64 v[163:164], v[181:182], v[163:164]
	v_fma_f64 v[181:182], v[76:77], s[14:15], v[167:168]
	v_add_f64 v[120:121], v[120:121], -v[160:161]
	v_add_f64 v[116:117], v[116:117], v[154:155]
	v_mul_f64 v[128:129], v[128:129], s[24:25]
	v_add_f64 v[22:23], v[32:33], v[22:23]
	v_fma_f64 v[32:33], v[78:79], s[14:15], -v[34:35]
	v_mul_f64 v[92:93], v[92:93], s[24:25]
	v_add_f64 v[52:53], v[52:53], v[152:153]
	v_fma_f64 v[152:153], v[86:87], s[14:15], v[90:91]
	v_add_f64 v[70:71], v[94:95], v[70:71]
	v_add_f64 v[106:107], v[148:149], v[106:107]
	;; [unrolled: 1-line block ×3, first 2 shown]
	v_mul_f64 v[146:147], v[80:81], s[26:27]
	v_add_f64 v[40:41], v[40:41], v[140:141]
	v_add_f64 v[138:139], v[138:139], v[158:159]
	;; [unrolled: 1-line block ×3, first 2 shown]
	v_fma_f64 v[130:131], v[88:89], s[14:15], -v[173:174]
	v_fma_f64 v[160:161], v[76:77], s[14:15], -v[167:168]
	v_fma_f64 v[167:168], v[88:89], s[14:15], v[173:174]
	v_fma_f64 v[173:174], v[86:87], s[26:27], v[195:196]
	v_fma_f64 v[34:35], v[78:79], s[14:15], v[34:35]
	v_add_f64 v[66:67], v[66:67], v[171:172]
	v_fma_f64 v[86:87], v[86:87], s[14:15], -v[90:91]
	v_add_f64 v[68:69], v[68:69], v[156:157]
	v_add_f64 v[26:27], v[30:31], v[26:27]
	;; [unrolled: 1-line block ×4, first 2 shown]
	v_mul_f64 v[179:180], v[82:83], s[14:15]
	v_add_f64 v[50:51], v[54:55], v[50:51]
	v_mul_f64 v[54:55], v[132:133], s[36:37]
	v_add_f64 v[46:47], v[142:143], v[46:47]
	;; [unrolled: 2-line block ×3, first 2 shown]
	v_mul_f64 v[134:135], v[132:133], s[40:41]
	v_mul_f64 v[154:155], v[96:97], s[40:41]
	v_add_f64 v[110:111], v[110:111], -v[169:170]
	v_add_f64 v[116:117], v[120:121], v[116:117]
	v_add_f64 v[38:39], v[38:39], v[102:103]
	v_mul_f64 v[102:103], v[132:133], s[30:31]
	v_mul_f64 v[96:97], v[96:97], s[30:31]
	v_fma_f64 v[120:121], v[72:73], s[6:7], -v[128:129]
	v_add_f64 v[22:23], v[32:33], v[22:23]
	v_fma_f64 v[32:33], v[80:81], s[6:7], v[92:93]
	v_add_f64 v[28:29], v[152:153], v[70:71]
	v_add_f64 v[30:31], v[106:107], v[52:53]
	v_mul_f64 v[187:188], v[82:83], s[4:5]
	v_add_f64 v[144:145], v[146:147], v[144:145]
	v_add_f64 v[40:41], v[40:41], v[138:139]
	v_fma_f64 v[181:182], v[80:81], s[14:15], v[189:190]
	v_add_f64 v[52:53], v[173:174], v[165:166]
	v_fma_f64 v[72:73], v[72:73], s[6:7], v[128:129]
	v_add_f64 v[34:35], v[34:35], v[66:67]
	v_fma_f64 v[66:67], v[80:81], s[6:7], -v[92:93]
	v_add_f64 v[68:69], v[86:87], v[68:69]
	v_add_f64 v[18:19], v[26:27], v[18:19]
	;; [unrolled: 1-line block ×3, first 2 shown]
	v_mul_f64 v[185:186], v[88:89], s[26:27]
	v_mul_f64 v[140:141], v[98:99], s[24:25]
	;; [unrolled: 1-line block ×4, first 2 shown]
	v_fma_f64 v[78:79], v[74:75], s[16:17], v[134:135]
	v_mul_f64 v[171:172], v[98:99], s[0:1]
	v_fma_f64 v[134:135], v[74:75], s[16:17], -v[134:135]
	v_add_f64 v[106:107], v[126:127], -v[142:143]
	v_add_f64 v[46:47], v[150:151], v[46:47]
	v_add_f64 v[54:55], v[112:113], -v[54:55]
	v_add_f64 v[80:81], v[110:111], v[116:117]
	v_add_f64 v[86:87], v[179:180], v[104:105]
	v_mul_f64 v[92:93], v[136:137], s[22:23]
	v_mul_f64 v[98:99], v[98:99], s[22:23]
	v_fma_f64 v[104:105], v[74:75], s[18:19], -v[102:103]
	v_add_f64 v[22:23], v[120:121], v[22:23]
	v_fma_f64 v[110:111], v[82:83], s[18:19], v[96:97]
	v_add_f64 v[24:25], v[32:33], v[28:29]
	v_mul_f64 v[146:147], v[136:137], s[24:25]
	v_add_f64 v[26:27], v[38:39], v[30:31]
	v_mul_f64 v[158:159], v[88:89], s[18:19]
	v_add_f64 v[118:119], v[187:188], v[118:119]
	v_add_f64 v[28:29], v[144:145], v[40:41]
	v_fma_f64 v[70:71], v[82:83], s[16:17], v[154:155]
	v_add_f64 v[30:31], v[181:182], v[52:53]
	v_fma_f64 v[90:91], v[82:83], s[16:17], -v[154:155]
	v_fma_f64 v[74:75], v[74:75], s[18:19], v[102:103]
	v_add_f64 v[34:35], v[72:73], v[34:35]
	v_fma_f64 v[72:73], v[82:83], s[18:19], -v[96:97]
	v_add_f64 v[66:67], v[66:67], v[68:69]
	v_add_f64 v[102:103], v[18:19], v[14:15]
	;; [unrolled: 1-line block ×3, first 2 shown]
	v_fma_f64 v[32:33], v[76:77], s[4:5], -v[94:95]
	v_add_f64 v[38:39], v[134:135], v[163:164]
	v_add_f64 v[40:41], v[124:125], -v[122:123]
	v_add_f64 v[46:47], v[106:107], v[46:47]
	v_add_f64 v[54:55], v[54:55], v[80:81]
	;; [unrolled: 1-line block ×3, first 2 shown]
	v_fma_f64 v[96:97], v[76:77], s[16:17], -v[92:93]
	v_add_f64 v[22:23], v[104:105], v[22:23]
	v_fma_f64 v[100:101], v[88:89], s[16:17], v[98:99]
	v_add_f64 v[104:105], v[110:111], v[24:25]
	v_fma_f64 v[84:85], v[76:77], s[6:7], v[146:147]
	v_fma_f64 v[146:147], v[76:77], s[6:7], -v[146:147]
	v_add_f64 v[82:83], v[108:109], -v[175:176]
	v_add_f64 v[26:27], v[86:87], v[26:27]
	v_add_f64 v[68:69], v[158:159], v[114:115]
	;; [unrolled: 1-line block ×3, first 2 shown]
	v_fma_f64 v[52:53], v[88:89], s[4:5], v[171:172]
	v_add_f64 v[70:71], v[70:71], v[30:31]
	v_fma_f64 v[148:149], v[88:89], s[6:7], -v[140:141]
	v_fma_f64 v[140:141], v[88:89], s[6:7], v[140:141]
	v_fma_f64 v[94:95], v[76:77], s[4:5], v[94:95]
	v_add_f64 v[48:49], v[78:79], v[48:49]
	v_fma_f64 v[78:79], v[88:89], s[4:5], -v[171:172]
	v_add_f64 v[50:51], v[90:91], v[50:51]
	v_fma_f64 v[76:77], v[76:77], s[16:17], v[92:93]
	v_add_f64 v[74:75], v[74:75], v[34:35]
	v_fma_f64 v[88:89], v[88:89], s[16:17], -v[98:99]
	v_add_f64 v[66:67], v[72:73], v[66:67]
	v_add_f64 v[10:11], v[102:103], v[10:11]
	;; [unrolled: 1-line block ×21, first 2 shown]
	v_mad_u32_u24 v16, 0xc0, v62, v162
	v_add_f64 v[50:51], v[88:89], v[66:67]
	ds_write_b128 v16, v[8:11]
	ds_write_b128 v16, v[38:41] offset:16
	ds_write_b128 v16, v[34:37] offset:32
	;; [unrolled: 1-line block ×12, first 2 shown]
.LBB0_15:
	s_or_b32 exec_lo, exec_lo, s33
	s_waitcnt lgkmcnt(0)
	s_barrier
	buffer_gl0_inv
	ds_read_b128 v[16:19], v162
	ds_read_b128 v[24:27], v162 offset:2496
	ds_read_b128 v[8:11], v162 offset:16224
	;; [unrolled: 1-line block ×9, first 2 shown]
	v_cmp_gt_u32_e64 s0, 0x4e, v62
	s_and_saveexec_b32 s1, s0
	s_cbranch_execz .LBB0_17
; %bb.16:
	ds_read_b128 v[0:3], v162 offset:12480
	ds_read_b128 v[4:7], v162 offset:26208
.LBB0_17:
	s_or_b32 exec_lo, exec_lo, s1
	v_and_b32_e32 v48, 0xff, v62
	v_add_nc_u32_e32 v49, 0x9c, v62
	v_mov_b32_e32 v55, 0x4ec5
	v_add_nc_u32_e32 v53, 0x138, v62
	v_add_nc_u32_e32 v52, 0x1d4, v62
	v_mul_lo_u16 v50, 0x4f, v48
	v_add_nc_u32_e32 v51, 0x270, v62
	v_mul_u32_u24_sdwa v56, v49, v55 dst_sel:DWORD dst_unused:UNUSED_PAD src0_sel:WORD_0 src1_sel:DWORD
	v_add_nc_u32_e32 v48, 0x30c, v62
	v_mul_u32_u24_sdwa v57, v53, v55 dst_sel:DWORD dst_unused:UNUSED_PAD src0_sel:WORD_0 src1_sel:DWORD
	v_lshrrev_b16 v59, 10, v50
	v_mul_u32_u24_sdwa v58, v52, v55 dst_sel:DWORD dst_unused:UNUSED_PAD src0_sel:WORD_0 src1_sel:DWORD
	v_lshrrev_b32_e32 v100, 18, v56
	v_mul_u32_u24_sdwa v63, v51, v55 dst_sel:DWORD dst_unused:UNUSED_PAD src0_sel:WORD_0 src1_sel:DWORD
	v_mul_u32_u24_sdwa v55, v48, v55 dst_sel:DWORD dst_unused:UNUSED_PAD src0_sel:WORD_0 src1_sel:DWORD
	v_mul_lo_u16 v56, v59, 13
	v_lshrrev_b32_e32 v101, 18, v57
	v_mov_b32_e32 v54, 4
	v_lshrrev_b32_e32 v102, 18, v58
	v_mul_lo_u16 v57, v100, 13
	v_sub_nc_u16 v56, v62, v56
	v_lshrrev_b32_e32 v63, 18, v63
	v_mul_lo_u16 v58, v101, 13
	v_lshrrev_b32_e32 v55, 18, v55
	v_sub_nc_u16 v57, v49, v57
	v_lshlrev_b32_sdwa v103, v54, v56 dst_sel:DWORD dst_unused:UNUSED_PAD src0_sel:DWORD src1_sel:BYTE_0
	v_mul_lo_u16 v56, v102, 13
	v_mul_lo_u16 v66, v63, 13
	v_sub_nc_u16 v58, v53, v58
	v_mul_lo_u16 v67, v55, 13
	v_lshlrev_b32_sdwa v104, v54, v57 dst_sel:DWORD dst_unused:UNUSED_PAD src0_sel:DWORD src1_sel:WORD_0
	v_sub_nc_u16 v56, v52, v56
	v_sub_nc_u16 v57, v51, v66
	v_lshlrev_b32_sdwa v105, v54, v58 dst_sel:DWORD dst_unused:UNUSED_PAD src0_sel:DWORD src1_sel:WORD_0
	v_sub_nc_u16 v58, v48, v67
	s_clause 0x1
	global_load_dwordx4 v[66:69], v103, s[12:13]
	global_load_dwordx4 v[70:73], v104, s[12:13]
	v_lshlrev_b32_sdwa v106, v54, v56 dst_sel:DWORD dst_unused:UNUSED_PAD src0_sel:DWORD src1_sel:WORD_0
	v_lshlrev_b32_sdwa v107, v54, v57 dst_sel:DWORD dst_unused:UNUSED_PAD src0_sel:DWORD src1_sel:WORD_0
	;; [unrolled: 1-line block ×3, first 2 shown]
	s_clause 0x3
	global_load_dwordx4 v[74:77], v105, s[12:13]
	global_load_dwordx4 v[78:81], v106, s[12:13]
	;; [unrolled: 1-line block ×4, first 2 shown]
	s_load_dwordx2 s[2:3], s[2:3], 0x0
	s_waitcnt vmcnt(0) lgkmcnt(0)
	s_barrier
	buffer_gl0_inv
	v_mul_f64 v[57:58], v[46:47], v[68:69]
	v_mul_f64 v[68:69], v[44:45], v[68:69]
	;; [unrolled: 1-line block ×12, first 2 shown]
	v_fma_f64 v[44:45], v[44:45], v[66:67], v[57:58]
	v_fma_f64 v[46:47], v[46:47], v[66:67], -v[68:69]
	v_fma_f64 v[8:9], v[8:9], v[70:71], v[90:91]
	v_fma_f64 v[10:11], v[10:11], v[70:71], -v[72:73]
	;; [unrolled: 2-line block ×6, first 2 shown]
	v_add_f64 v[40:41], v[16:17], -v[44:45]
	v_add_f64 v[42:43], v[18:19], -v[46:47]
	;; [unrolled: 1-line block ×12, first 2 shown]
	v_mov_b32_e32 v4, 0x1a0
	v_mul_u32_u24_e32 v58, 0x1a0, v100
	v_mul_u32_u24_sdwa v57, v59, v4 dst_sel:DWORD dst_unused:UNUSED_PAD src0_sel:WORD_0 src1_sel:DWORD
	v_fma_f64 v[70:71], v[16:17], 2.0, -v[40:41]
	v_fma_f64 v[72:73], v[18:19], 2.0, -v[42:43]
	;; [unrolled: 1-line block ×12, first 2 shown]
	v_mul_u32_u24_e32 v28, 0x1a0, v101
	v_mul_u32_u24_e32 v29, 0x1a0, v102
	;; [unrolled: 1-line block ×3, first 2 shown]
	v_add3_u32 v31, 0, v57, v103
	v_add3_u32 v36, 0, v58, v104
	;; [unrolled: 1-line block ×5, first 2 shown]
	ds_write_b128 v31, v[40:43] offset:208
	ds_write_b128 v31, v[70:73]
	ds_write_b128 v36, v[24:27]
	ds_write_b128 v36, v[44:47] offset:208
	ds_write_b128 v28, v[32:35]
	ds_write_b128 v28, v[66:69] offset:208
	;; [unrolled: 2-line block ×4, first 2 shown]
	s_and_saveexec_b32 s1, s0
	s_cbranch_execz .LBB0_19
; %bb.18:
	v_mul_lo_u16 v24, v55, 26
	v_lshlrev_b32_sdwa v24, v54, v24 dst_sel:DWORD dst_unused:UNUSED_PAD src0_sel:DWORD src1_sel:WORD_0
	v_add3_u32 v24, 0, v56, v24
	ds_write_b128 v24, v[0:3]
	ds_write_b128 v24, v[20:23] offset:208
.LBB0_19:
	s_or_b32 exec_lo, exec_lo, s1
	s_waitcnt lgkmcnt(0)
	s_barrier
	buffer_gl0_inv
	ds_read_b128 v[24:27], v162
	ds_read_b128 v[28:31], v162 offset:4576
	ds_read_b128 v[32:35], v162 offset:9152
	;; [unrolled: 1-line block ×5, first 2 shown]
	v_cmp_gt_u32_e64 s1, 0x82, v62
	s_and_saveexec_b32 s4, s1
	s_cbranch_execz .LBB0_21
; %bb.20:
	ds_read_b128 v[4:7], v162 offset:2496
	ds_read_b128 v[8:11], v162 offset:7072
	;; [unrolled: 1-line block ×6, first 2 shown]
.LBB0_21:
	s_or_b32 exec_lo, exec_lo, s4
	v_lshrrev_b16 v63, 11, v50
	v_mov_b32_e32 v50, 5
	s_mov_b32 s4, 0xe8584caa
	s_mov_b32 s5, 0xbfebb67a
	;; [unrolled: 1-line block ×3, first 2 shown]
	v_mul_lo_u16 v54, v63, 26
	s_mov_b32 s6, s4
	v_sub_nc_u16 v86, v62, v54
	v_mul_u32_u24_sdwa v54, v86, v50 dst_sel:DWORD dst_unused:UNUSED_PAD src0_sel:BYTE_0 src1_sel:DWORD
	v_lshlrev_b32_e32 v58, 4, v54
	s_clause 0x4
	global_load_dwordx4 v[54:57], v58, s[12:13] offset:240
	global_load_dwordx4 v[66:69], v58, s[12:13] offset:272
	;; [unrolled: 1-line block ×5, first 2 shown]
	s_waitcnt vmcnt(0) lgkmcnt(0)
	s_barrier
	buffer_gl0_inv
	v_mul_f64 v[58:59], v[40:41], v[56:57]
	v_mul_f64 v[82:83], v[44:45], v[68:69]
	;; [unrolled: 1-line block ×5, first 2 shown]
	v_fma_f64 v[42:43], v[42:43], v[54:55], -v[58:59]
	v_fma_f64 v[46:47], v[46:47], v[66:67], -v[82:83]
	v_mul_f64 v[58:59], v[30:31], v[72:73]
	v_mul_f64 v[72:73], v[34:35], v[76:77]
	;; [unrolled: 1-line block ×5, first 2 shown]
	v_fma_f64 v[40:41], v[40:41], v[54:55], v[56:57]
	v_fma_f64 v[44:45], v[44:45], v[66:67], v[68:69]
	v_fma_f64 v[30:31], v[30:31], v[70:71], -v[84:85]
	v_add_f64 v[54:55], v[42:43], v[46:47]
	v_fma_f64 v[28:29], v[28:29], v[70:71], v[58:59]
	v_fma_f64 v[32:33], v[32:33], v[74:75], v[72:73]
	v_fma_f64 v[34:35], v[34:35], v[74:75], -v[76:77]
	v_fma_f64 v[36:37], v[36:37], v[78:79], v[82:83]
	v_fma_f64 v[38:39], v[38:39], v[78:79], -v[80:81]
	v_add_f64 v[70:71], v[42:43], -v[46:47]
	v_add_f64 v[56:57], v[40:41], v[44:45]
	v_add_f64 v[58:59], v[40:41], -v[44:45]
	v_fma_f64 v[54:55], v[54:55], -0.5, v[30:31]
	v_add_f64 v[30:31], v[30:31], v[42:43]
	v_add_f64 v[66:67], v[32:33], v[36:37]
	;; [unrolled: 1-line block ×3, first 2 shown]
	v_add_f64 v[74:75], v[34:35], -v[38:39]
	v_fma_f64 v[56:57], v[56:57], -0.5, v[28:29]
	v_add_f64 v[34:35], v[26:27], v[34:35]
	v_add_f64 v[28:29], v[28:29], v[40:41]
	v_fma_f64 v[72:73], v[58:59], s[6:7], v[54:55]
	v_fma_f64 v[54:55], v[58:59], s[4:5], v[54:55]
	v_add_f64 v[58:59], v[24:25], v[32:33]
	v_add_f64 v[32:33], v[32:33], -v[36:37]
	v_fma_f64 v[24:25], v[66:67], -0.5, v[24:25]
	v_fma_f64 v[26:27], v[68:69], -0.5, v[26:27]
	v_fma_f64 v[40:41], v[70:71], s[4:5], v[56:57]
	v_fma_f64 v[42:43], v[70:71], s[6:7], v[56:57]
	v_add_f64 v[34:35], v[34:35], v[38:39]
	v_add_f64 v[38:39], v[28:29], v[44:45]
	;; [unrolled: 1-line block ×3, first 2 shown]
	v_mul_f64 v[56:57], v[72:73], s[4:5]
	v_mul_f64 v[68:69], v[72:73], 0.5
	v_mul_f64 v[66:67], v[54:55], s[4:5]
	v_mul_f64 v[54:55], v[54:55], -0.5
	v_add_f64 v[36:37], v[58:59], v[36:37]
	v_fma_f64 v[46:47], v[74:75], s[4:5], v[24:25]
	v_fma_f64 v[70:71], v[32:33], s[6:7], v[26:27]
	;; [unrolled: 1-line block ×4, first 2 shown]
	v_mov_b32_e32 v24, 4
	v_add_f64 v[27:28], v[34:35], v[44:45]
	v_add_f64 v[31:32], v[34:35], -v[44:45]
	v_mov_b32_e32 v45, 0x9c0
	v_mul_u32_u24_sdwa v45, v63, v45 dst_sel:DWORD dst_unused:UNUSED_PAD src0_sel:WORD_0 src1_sel:DWORD
	v_fma_f64 v[56:57], v[40:41], 0.5, v[56:57]
	v_fma_f64 v[68:69], v[40:41], s[6:7], v[68:69]
	v_fma_f64 v[66:67], v[42:43], -0.5, v[66:67]
	v_fma_f64 v[74:75], v[42:43], s[6:7], v[54:55]
	v_add_f64 v[25:26], v[36:37], v[38:39]
	v_add_f64 v[29:30], v[36:37], -v[38:39]
	v_add_f64 v[33:34], v[46:47], v[56:57]
	v_add_f64 v[35:36], v[70:71], v[68:69]
	;; [unrolled: 1-line block ×4, first 2 shown]
	v_add_f64 v[41:42], v[46:47], -v[56:57]
	v_add_f64 v[43:44], v[70:71], -v[68:69]
	;; [unrolled: 1-line block ×4, first 2 shown]
	v_lshlrev_b32_sdwa v46, v24, v86 dst_sel:DWORD dst_unused:UNUSED_PAD src0_sel:DWORD src1_sel:BYTE_0
	v_add3_u32 v45, 0, v45, v46
	ds_write_b128 v45, v[25:28]
	ds_write_b128 v45, v[29:32] offset:1248
	ds_write_b128 v45, v[33:36] offset:416
	ds_write_b128 v45, v[37:40] offset:832
	ds_write_b128 v45, v[41:44] offset:1664
	ds_write_b128 v45, v[54:57] offset:2080
	s_and_saveexec_b32 s8, s1
	s_cbranch_execz .LBB0_23
; %bb.22:
	v_mov_b32_e32 v25, 0x4ec5
	v_mul_u32_u24_sdwa v25, v49, v25 dst_sel:DWORD dst_unused:UNUSED_PAD src0_sel:WORD_0 src1_sel:DWORD
	v_lshrrev_b32_e32 v47, 19, v25
	v_mul_lo_u16 v25, v47, 26
	v_sub_nc_u16 v58, v49, v25
	v_mul_u32_u24_sdwa v25, v58, v50 dst_sel:DWORD dst_unused:UNUSED_PAD src0_sel:WORD_0 src1_sel:DWORD
	v_lshlrev_b32_e32 v41, 4, v25
	s_clause 0x4
	global_load_dwordx4 v[25:28], v41, s[12:13] offset:240
	global_load_dwordx4 v[29:32], v41, s[12:13] offset:272
	;; [unrolled: 1-line block ×5, first 2 shown]
	s_waitcnt vmcnt(4)
	v_mul_f64 v[45:46], v[12:13], v[27:28]
	s_waitcnt vmcnt(3)
	v_mul_f64 v[54:55], v[20:21], v[31:32]
	v_mul_f64 v[27:28], v[14:15], v[27:28]
	;; [unrolled: 1-line block ×3, first 2 shown]
	s_waitcnt vmcnt(2)
	v_mul_f64 v[56:57], v[8:9], v[35:36]
	v_mul_f64 v[35:36], v[10:11], v[35:36]
	v_fma_f64 v[14:15], v[14:15], v[25:26], -v[45:46]
	v_fma_f64 v[22:23], v[22:23], v[29:30], -v[54:55]
	s_waitcnt vmcnt(1)
	v_mul_f64 v[45:46], v[16:17], v[39:40]
	s_waitcnt vmcnt(0)
	v_mul_f64 v[54:55], v[0:1], v[43:44]
	v_fma_f64 v[12:13], v[12:13], v[25:26], v[27:28]
	v_fma_f64 v[20:21], v[20:21], v[29:30], v[31:32]
	v_fma_f64 v[10:11], v[10:11], v[33:34], -v[56:57]
	v_mul_f64 v[27:28], v[18:19], v[39:40]
	v_mul_f64 v[29:30], v[2:3], v[43:44]
	v_fma_f64 v[8:9], v[8:9], v[33:34], v[35:36]
	v_add_f64 v[25:26], v[14:15], v[22:23]
	v_fma_f64 v[18:19], v[18:19], v[37:38], -v[45:46]
	v_fma_f64 v[2:3], v[2:3], v[41:42], -v[54:55]
	v_add_f64 v[31:32], v[12:13], v[20:21]
	v_add_f64 v[33:34], v[12:13], -v[20:21]
	v_fma_f64 v[16:17], v[16:17], v[37:38], v[27:28]
	v_fma_f64 v[0:1], v[0:1], v[41:42], v[29:30]
	v_add_f64 v[29:30], v[14:15], -v[22:23]
	v_fma_f64 v[25:26], v[25:26], -0.5, v[10:11]
	v_add_f64 v[39:40], v[6:7], v[18:19]
	v_add_f64 v[27:28], v[18:19], v[2:3]
	;; [unrolled: 1-line block ×3, first 2 shown]
	v_fma_f64 v[31:32], v[31:32], -0.5, v[8:9]
	v_add_f64 v[8:9], v[8:9], v[12:13]
	v_add_f64 v[14:15], v[18:19], -v[2:3]
	v_add_f64 v[37:38], v[16:17], -v[0:1]
	v_fma_f64 v[35:36], v[33:34], s[4:5], v[25:26]
	v_fma_f64 v[25:26], v[33:34], s[6:7], v[25:26]
	v_add_f64 v[33:34], v[16:17], v[0:1]
	v_add_f64 v[16:17], v[4:5], v[16:17]
	v_fma_f64 v[6:7], v[27:28], -0.5, v[6:7]
	v_fma_f64 v[12:13], v[29:30], s[6:7], v[31:32]
	v_fma_f64 v[18:19], v[29:30], s[4:5], v[31:32]
	v_add_f64 v[10:11], v[10:11], v[22:23]
	v_add_f64 v[8:9], v[8:9], v[20:21]
	v_mul_f64 v[27:28], v[35:36], -0.5
	v_mul_f64 v[29:30], v[25:26], 0.5
	v_fma_f64 v[4:5], v[33:34], -0.5, v[4:5]
	v_mul_f64 v[25:26], v[25:26], s[4:5]
	v_mul_f64 v[31:32], v[35:36], s[4:5]
	v_add_f64 v[33:34], v[39:40], v[2:3]
	v_add_f64 v[16:17], v[16:17], v[0:1]
	v_fma_f64 v[20:21], v[37:38], s[4:5], v[6:7]
	v_fma_f64 v[22:23], v[37:38], s[6:7], v[6:7]
	;; [unrolled: 1-line block ×5, first 2 shown]
	v_fma_f64 v[25:26], v[18:19], 0.5, v[25:26]
	v_fma_f64 v[35:36], v[14:15], s[6:7], v[4:5]
	v_fma_f64 v[31:32], v[12:13], -0.5, v[31:32]
	v_add_f64 v[6:7], v[33:34], v[10:11]
	v_add_f64 v[4:5], v[16:17], v[8:9]
	v_add_f64 v[2:3], v[33:34], -v[10:11]
	v_add_f64 v[0:1], v[16:17], -v[8:9]
	;; [unrolled: 1-line block ×4, first 2 shown]
	v_add_f64 v[18:19], v[20:21], v[27:28]
	v_add_f64 v[22:23], v[22:23], v[29:30]
	;; [unrolled: 1-line block ×4, first 2 shown]
	v_add_f64 v[12:13], v[37:38], -v[25:26]
	v_add_f64 v[8:9], v[35:36], -v[31:32]
	v_mul_lo_u16 v25, 0x9c, v47
	v_lshlrev_b32_sdwa v25, v24, v25 dst_sel:DWORD dst_unused:UNUSED_PAD src0_sel:DWORD src1_sel:WORD_0
	v_lshlrev_b32_sdwa v24, v24, v58 dst_sel:DWORD dst_unused:UNUSED_PAD src0_sel:DWORD src1_sel:WORD_0
	v_add3_u32 v24, 0, v24, v25
	ds_write_b128 v24, v[4:7]
	ds_write_b128 v24, v[0:3] offset:1248
	ds_write_b128 v24, v[20:23] offset:416
	;; [unrolled: 1-line block ×5, first 2 shown]
.LBB0_23:
	s_or_b32 exec_lo, exec_lo, s8
	v_mul_u32_u24_e32 v0, 10, v62
	s_waitcnt lgkmcnt(0)
	s_barrier
	buffer_gl0_inv
	s_mov_b32 s4, 0xf8bb580b
	v_lshlrev_b32_e32 v0, 4, v0
	s_mov_b32 s8, 0x8764f0ba
	s_mov_b32 s5, 0xbfe14ced
	;; [unrolled: 1-line block ×4, first 2 shown]
	v_add_co_u32 v16, s1, s12, v0
	v_add_co_ci_u32_e64 v17, null, s13, 0, s1
	s_mov_b32 s18, 0xd9c712b6
	v_add_co_u32 v0, s1, 0x800, v16
	v_add_co_ci_u32_e64 v1, s1, 0, v17, s1
	v_add_co_u32 v2, s1, 0x970, v16
	v_add_co_ci_u32_e64 v3, s1, 0, v17, s1
	;; [unrolled: 2-line block ×3, first 2 shown]
	s_clause 0x2
	global_load_dwordx4 v[4:7], v[0:1], off offset:240
	global_load_dwordx4 v[8:11], v[2:3], off offset:16
	;; [unrolled: 1-line block ×3, first 2 shown]
	v_add_co_u32 v2, s1, 0x930, v16
	v_add_co_ci_u32_e64 v3, s1, 0, v17, s1
	s_clause 0x6
	global_load_dwordx4 v[16:19], v[0:1], off offset:368
	global_load_dwordx4 v[20:23], v[28:29], off offset:32
	;; [unrolled: 1-line block ×7, first 2 shown]
	ds_read_b128 v[0:3], v162
	ds_read_b128 v[54:57], v162 offset:2496
	ds_read_b128 v[66:69], v162 offset:4992
	;; [unrolled: 1-line block ×10, first 2 shown]
	s_mov_b32 s15, 0xbfed1bb4
	s_mov_b32 s19, 0x3fda9628
	;; [unrolled: 1-line block ×24, first 2 shown]
	s_waitcnt vmcnt(0) lgkmcnt(0)
	s_barrier
	buffer_gl0_inv
	v_mov_b32_e32 v63, 0
	v_mul_f64 v[28:29], v[56:57], v[6:7]
	v_mul_f64 v[6:7], v[54:55], v[6:7]
	;; [unrolled: 1-line block ×20, first 2 shown]
	v_fma_f64 v[54:55], v[54:55], v[4:5], v[28:29]
	v_fma_f64 v[56:57], v[56:57], v[4:5], -v[6:7]
	v_fma_f64 v[4:5], v[100:101], v[8:9], -v[46:47]
	v_fma_f64 v[46:47], v[66:67], v[12:13], v[58:59]
	v_fma_f64 v[6:7], v[98:99], v[8:9], v[10:11]
	v_fma_f64 v[58:59], v[68:69], v[12:13], -v[14:15]
	v_fma_f64 v[8:9], v[94:95], v[16:17], v[102:103]
	v_fma_f64 v[10:11], v[96:97], v[16:17], -v[18:19]
	v_fma_f64 v[28:29], v[74:75], v[30:31], v[108:109]
	v_fma_f64 v[30:31], v[76:77], v[30:31], -v[32:33]
	v_fma_f64 v[16:17], v[86:87], v[34:35], v[110:111]
	v_fma_f64 v[18:19], v[88:89], v[34:35], -v[36:37]
	v_fma_f64 v[66:67], v[70:71], v[20:21], v[104:105]
	v_fma_f64 v[68:69], v[72:73], v[20:21], -v[22:23]
	v_fma_f64 v[12:13], v[90:91], v[24:25], v[106:107]
	v_fma_f64 v[14:15], v[92:93], v[24:25], -v[26:27]
	v_fma_f64 v[24:25], v[78:79], v[38:39], v[112:113]
	v_fma_f64 v[26:27], v[80:81], v[38:39], -v[40:41]
	v_fma_f64 v[20:21], v[84:85], v[42:43], -v[114:115]
	v_fma_f64 v[22:23], v[82:83], v[42:43], v[44:45]
	v_add_f64 v[32:33], v[0:1], v[54:55]
	v_add_f64 v[34:35], v[2:3], v[56:57]
	v_add_f64 v[36:37], v[56:57], -v[4:5]
	v_add_f64 v[38:39], v[56:57], v[4:5]
	v_add_f64 v[40:41], v[54:55], v[6:7]
	v_add_f64 v[42:43], v[54:55], -v[6:7]
	v_add_f64 v[44:45], v[46:47], v[8:9]
	v_add_f64 v[54:55], v[58:59], -v[10:11]
	;; [unrolled: 2-line block ×3, first 2 shown]
	v_add_f64 v[80:81], v[28:29], v[16:17]
	v_add_f64 v[82:83], v[30:31], v[18:19]
	v_add_f64 v[84:85], v[30:31], -v[18:19]
	v_add_f64 v[86:87], v[28:29], -v[16:17]
	v_add_f64 v[72:73], v[66:67], v[12:13]
	v_add_f64 v[74:75], v[68:69], v[14:15]
	v_add_f64 v[78:79], v[68:69], -v[14:15]
	v_add_f64 v[76:77], v[66:67], -v[12:13]
	;; [unrolled: 1-line block ×3, first 2 shown]
	v_add_f64 v[92:93], v[26:27], v[20:21]
	v_add_f64 v[90:91], v[24:25], v[22:23]
	v_add_f64 v[94:95], v[24:25], -v[22:23]
	v_add_f64 v[32:33], v[32:33], v[46:47]
	v_add_f64 v[34:35], v[34:35], v[58:59]
	v_mul_f64 v[46:47], v[36:37], s[4:5]
	v_mul_f64 v[58:59], v[38:39], s[8:9]
	;; [unrolled: 1-line block ×20, first 2 shown]
	v_add_f64 v[32:33], v[32:33], v[66:67]
	v_add_f64 v[34:35], v[34:35], v[68:69]
	v_fma_f64 v[66:67], v[40:41], s[8:9], v[46:47]
	v_fma_f64 v[68:69], v[42:43], s[6:7], v[58:59]
	v_fma_f64 v[46:47], v[40:41], s[8:9], -v[46:47]
	v_fma_f64 v[58:59], v[42:43], s[4:5], v[58:59]
	v_fma_f64 v[173:174], v[40:41], s[18:19], v[96:97]
	;; [unrolled: 1-line block ×3, first 2 shown]
	v_mul_f64 v[124:125], v[78:79], s[20:21]
	v_mul_f64 v[126:127], v[74:75], s[24:25]
	;; [unrolled: 1-line block ×14, first 2 shown]
	v_add_f64 v[28:29], v[32:33], v[28:29]
	v_add_f64 v[30:31], v[34:35], v[30:31]
	v_mul_f64 v[148:149], v[84:85], s[34:35]
	v_mul_f64 v[84:85], v[84:85], s[16:17]
	;; [unrolled: 1-line block ×16, first 2 shown]
	v_fma_f64 v[96:97], v[40:41], s[18:19], -v[96:97]
	v_fma_f64 v[177:178], v[40:41], s[24:25], v[100:101]
	v_fma_f64 v[179:180], v[42:43], s[22:23], v[102:103]
	v_fma_f64 v[100:101], v[40:41], s[24:25], -v[100:101]
	v_fma_f64 v[181:182], v[40:41], s[30:31], v[104:105]
	v_fma_f64 v[183:184], v[42:43], s[28:29], v[106:107]
	;; [unrolled: 3-line block ×4, first 2 shown]
	v_fma_f64 v[102:103], v[42:43], s[20:21], v[102:103]
	v_fma_f64 v[98:99], v[42:43], s[14:15], v[98:99]
	v_add_f64 v[24:25], v[28:29], v[24:25]
	v_add_f64 v[26:27], v[30:31], v[26:27]
	v_fma_f64 v[40:41], v[44:45], s[18:19], v[108:109]
	v_fma_f64 v[42:43], v[70:71], s[16:17], v[110:111]
	v_add_f64 v[28:29], v[0:1], v[66:67]
	v_add_f64 v[30:31], v[2:3], v[68:69]
	v_fma_f64 v[108:109], v[44:45], s[18:19], -v[108:109]
	v_fma_f64 v[110:111], v[70:71], s[14:15], v[110:111]
	v_fma_f64 v[189:190], v[44:45], s[30:31], v[112:113]
	v_fma_f64 v[191:192], v[70:71], s[28:29], v[114:115]
	v_add_f64 v[46:47], v[0:1], v[46:47]
	v_add_f64 v[58:59], v[2:3], v[58:59]
	;; [unrolled: 1-line block ×4, first 2 shown]
	v_fma_f64 v[112:113], v[44:45], s[30:31], -v[112:113]
	v_fma_f64 v[114:115], v[70:71], s[26:27], v[114:115]
	v_fma_f64 v[193:194], v[44:45], s[38:39], v[116:117]
	v_fma_f64 v[195:196], v[70:71], s[34:35], v[118:119]
	v_fma_f64 v[116:117], v[44:45], s[38:39], -v[116:117]
	v_fma_f64 v[118:119], v[70:71], s[36:37], v[118:119]
	v_fma_f64 v[197:198], v[44:45], s[24:25], v[120:121]
	v_fma_f64 v[199:200], v[70:71], s[20:21], v[122:123]
	;; [unrolled: 4-line block ×8, first 2 shown]
	v_fma_f64 v[72:73], v[72:73], s[30:31], -v[78:79]
	v_fma_f64 v[74:75], v[76:77], s[26:27], v[74:75]
	v_fma_f64 v[76:77], v[80:81], s[30:31], v[140:141]
	v_fma_f64 v[78:79], v[80:81], s[30:31], -v[140:141]
	v_fma_f64 v[140:141], v[80:81], s[24:25], v[144:145]
	v_fma_f64 v[144:145], v[80:81], s[24:25], -v[144:145]
	;; [unrolled: 2-line block ×5, first 2 shown]
	v_fma_f64 v[84:85], v[86:87], s[28:29], v[142:143]
	v_fma_f64 v[142:143], v[86:87], s[26:27], v[142:143]
	;; [unrolled: 1-line block ×11, first 2 shown]
	v_fma_f64 v[34:35], v[90:91], s[38:39], -v[156:157]
	v_fma_f64 v[86:87], v[90:91], s[8:9], v[158:159]
	v_fma_f64 v[156:157], v[90:91], s[8:9], -v[158:159]
	v_fma_f64 v[158:159], v[90:91], s[30:31], v[160:161]
	v_fma_f64 v[160:161], v[90:91], s[30:31], -v[160:161]
	v_fma_f64 v[235:236], v[90:91], s[18:19], v[163:164]
	v_fma_f64 v[163:164], v[90:91], s[18:19], -v[163:164]
	v_fma_f64 v[237:238], v[90:91], s[24:25], v[88:89]
	v_fma_f64 v[88:89], v[90:91], s[24:25], -v[88:89]
	v_fma_f64 v[90:91], v[94:95], s[36:37], v[165:166]
	v_fma_f64 v[165:166], v[94:95], s[34:35], v[165:166]
	v_fma_f64 v[239:240], v[94:95], s[4:5], v[167:168]
	;; [unrolled: 1-line block ×9, first 2 shown]
	v_add_f64 v[94:95], v[0:1], v[96:97]
	v_add_f64 v[96:97], v[0:1], v[177:178]
	;; [unrolled: 1-line block ×104, first 2 shown]
	ds_write_b128 v162, v[0:3] offset:2496
	ds_write_b128 v162, v[12:15] offset:4992
	;; [unrolled: 1-line block ×10, first 2 shown]
	ds_write_b128 v162, v[44:47]
	s_waitcnt lgkmcnt(0)
	s_barrier
	buffer_gl0_inv
	ds_read_b128 v[4:7], v162
	v_lshlrev_b32_e32 v0, 4, v62
	s_add_u32 s4, s12, 0x6a70
	s_addc_u32 s5, s13, 0
	s_mov_b32 s6, exec_lo
                                        ; implicit-def: $vgpr2_vgpr3
                                        ; implicit-def: $vgpr8_vgpr9
	v_sub_nc_u32_e32 v10, 0, v0
	v_cmpx_ne_u32_e32 0, v62
	s_xor_b32 s6, exec_lo, s6
	s_cbranch_execz .LBB0_25
; %bb.24:
	v_lshlrev_b64 v[0:1], 4, v[62:63]
	v_add_co_u32 v0, s1, s4, v0
	v_add_co_ci_u32_e64 v1, s1, s5, v1, s1
	global_load_dwordx4 v[11:14], v[0:1], off
	ds_read_b128 v[0:3], v10 offset:27456
	s_waitcnt lgkmcnt(0)
	v_add_f64 v[8:9], v[4:5], -v[0:1]
	v_add_f64 v[15:16], v[6:7], v[2:3]
	v_add_f64 v[2:3], v[6:7], -v[2:3]
	v_add_f64 v[0:1], v[4:5], v[0:1]
	v_mul_f64 v[6:7], v[8:9], 0.5
	v_mul_f64 v[4:5], v[15:16], 0.5
	;; [unrolled: 1-line block ×3, first 2 shown]
	s_waitcnt vmcnt(0)
	v_mul_f64 v[8:9], v[6:7], v[13:14]
	v_fma_f64 v[15:16], v[4:5], v[13:14], v[2:3]
	v_fma_f64 v[2:3], v[4:5], v[13:14], -v[2:3]
	v_fma_f64 v[17:18], v[0:1], 0.5, v[8:9]
	v_fma_f64 v[0:1], v[0:1], 0.5, -v[8:9]
	v_fma_f64 v[8:9], -v[11:12], v[6:7], v[15:16]
	v_fma_f64 v[2:3], -v[11:12], v[6:7], v[2:3]
	v_fma_f64 v[13:14], v[4:5], v[11:12], v[17:18]
	v_fma_f64 v[0:1], -v[4:5], v[11:12], v[0:1]
                                        ; implicit-def: $vgpr4_vgpr5
	ds_write_b64 v162, v[13:14]
.LBB0_25:
	s_andn2_saveexec_b32 s1, s6
	s_cbranch_execz .LBB0_27
; %bb.26:
	v_mov_b32_e32 v15, 0
	s_waitcnt lgkmcnt(0)
	v_add_f64 v[13:14], v[4:5], v[6:7]
	v_add_f64 v[0:1], v[4:5], -v[6:7]
	v_mov_b32_e32 v8, 0
	v_mov_b32_e32 v9, 0
	ds_read_b64 v[11:12], v15 offset:13736
	v_mov_b32_e32 v2, v8
	v_mov_b32_e32 v3, v9
	s_waitcnt lgkmcnt(0)
	v_xor_b32_e32 v12, 0x80000000, v12
	ds_write_b64 v162, v[13:14]
	ds_write_b64 v15, v[11:12] offset:13736
.LBB0_27:
	s_or_b32 exec_lo, exec_lo, s1
	v_mov_b32_e32 v50, 0
	ds_write_b64 v162, v[8:9] offset:8
	ds_write_b128 v10, v[0:3] offset:27456
	s_waitcnt lgkmcnt(2)
	v_lshlrev_b64 v[4:5], 4, v[49:50]
	v_mov_b32_e32 v54, v50
	v_lshlrev_b64 v[11:12], 4, v[53:54]
	v_add_co_u32 v4, s1, s4, v4
	v_add_co_ci_u32_e64 v5, s1, s5, v5, s1
	v_mov_b32_e32 v53, v50
	v_add_co_u32 v11, s1, s4, v11
	global_load_dwordx4 v[4:7], v[4:5], off
	v_add_co_ci_u32_e64 v12, s1, s5, v12, s1
	v_lshlrev_b64 v[8:9], 4, v[52:53]
	v_mov_b32_e32 v52, v50
	global_load_dwordx4 v[11:14], v[11:12], off
	ds_read_b128 v[0:3], v162 offset:2496
	ds_read_b128 v[15:18], v10 offset:24960
	v_add_co_u32 v8, s1, s4, v8
	v_add_co_ci_u32_e64 v9, s1, s5, v9, s1
	global_load_dwordx4 v[19:22], v[8:9], off
	s_waitcnt lgkmcnt(0)
	v_add_f64 v[8:9], v[0:1], -v[15:16]
	v_add_f64 v[23:24], v[2:3], v[17:18]
	v_add_f64 v[2:3], v[2:3], -v[17:18]
	v_add_f64 v[0:1], v[0:1], v[15:16]
	v_mul_f64 v[8:9], v[8:9], 0.5
	v_mul_f64 v[17:18], v[23:24], 0.5
	;; [unrolled: 1-line block ×3, first 2 shown]
	s_waitcnt vmcnt(2)
	v_mul_f64 v[15:16], v[8:9], v[6:7]
	v_fma_f64 v[23:24], v[17:18], v[6:7], v[2:3]
	v_fma_f64 v[6:7], v[17:18], v[6:7], -v[2:3]
	v_fma_f64 v[25:26], v[0:1], 0.5, v[15:16]
	v_fma_f64 v[15:16], v[0:1], 0.5, -v[15:16]
	v_fma_f64 v[2:3], -v[4:5], v[8:9], v[23:24]
	v_fma_f64 v[6:7], -v[4:5], v[8:9], v[6:7]
	v_lshlrev_b64 v[8:9], 4, v[51:52]
	v_add_co_u32 v8, s1, s4, v8
	v_add_co_ci_u32_e64 v9, s1, s5, v9, s1
	v_fma_f64 v[0:1], v[17:18], v[4:5], v[25:26]
	v_fma_f64 v[4:5], -v[17:18], v[4:5], v[15:16]
	ds_write_b128 v162, v[0:3] offset:2496
	ds_write_b128 v10, v[4:7] offset:24960
	ds_read_b128 v[0:3], v162 offset:4992
	ds_read_b128 v[4:7], v10 offset:22464
	global_load_dwordx4 v[15:18], v[8:9], off
	s_waitcnt lgkmcnt(0)
	v_add_f64 v[8:9], v[0:1], -v[4:5]
	v_add_f64 v[23:24], v[2:3], v[6:7]
	v_add_f64 v[2:3], v[2:3], -v[6:7]
	v_add_f64 v[0:1], v[0:1], v[4:5]
	v_mul_f64 v[6:7], v[8:9], 0.5
	v_mul_f64 v[8:9], v[23:24], 0.5
	;; [unrolled: 1-line block ×3, first 2 shown]
	s_waitcnt vmcnt(2)
	v_mul_f64 v[4:5], v[6:7], v[13:14]
	v_fma_f64 v[23:24], v[8:9], v[13:14], v[2:3]
	v_fma_f64 v[13:14], v[8:9], v[13:14], -v[2:3]
	v_fma_f64 v[25:26], v[0:1], 0.5, v[4:5]
	v_fma_f64 v[4:5], v[0:1], 0.5, -v[4:5]
	v_fma_f64 v[2:3], -v[11:12], v[6:7], v[23:24]
	v_fma_f64 v[6:7], -v[11:12], v[6:7], v[13:14]
	v_fma_f64 v[0:1], v[8:9], v[11:12], v[25:26]
	v_fma_f64 v[4:5], -v[8:9], v[11:12], v[4:5]
	ds_write_b128 v162, v[0:3] offset:4992
	ds_write_b128 v10, v[4:7] offset:22464
	ds_read_b128 v[0:3], v162 offset:7488
	ds_read_b128 v[4:7], v10 offset:19968
	s_waitcnt lgkmcnt(0)
	v_add_f64 v[8:9], v[0:1], -v[4:5]
	v_add_f64 v[11:12], v[2:3], v[6:7]
	v_add_f64 v[2:3], v[2:3], -v[6:7]
	v_add_f64 v[0:1], v[0:1], v[4:5]
	v_mul_f64 v[6:7], v[8:9], 0.5
	v_mul_f64 v[8:9], v[11:12], 0.5
	;; [unrolled: 1-line block ×3, first 2 shown]
	s_waitcnt vmcnt(1)
	v_mul_f64 v[4:5], v[6:7], v[21:22]
	v_fma_f64 v[11:12], v[8:9], v[21:22], v[2:3]
	v_fma_f64 v[13:14], v[8:9], v[21:22], -v[2:3]
	v_fma_f64 v[21:22], v[0:1], 0.5, v[4:5]
	v_fma_f64 v[4:5], v[0:1], 0.5, -v[4:5]
	v_fma_f64 v[2:3], -v[19:20], v[6:7], v[11:12]
	v_fma_f64 v[6:7], -v[19:20], v[6:7], v[13:14]
	v_fma_f64 v[0:1], v[8:9], v[19:20], v[21:22]
	v_fma_f64 v[4:5], -v[8:9], v[19:20], v[4:5]
	ds_write_b128 v162, v[0:3] offset:7488
	ds_write_b128 v10, v[4:7] offset:19968
	ds_read_b128 v[0:3], v162 offset:9984
	ds_read_b128 v[4:7], v10 offset:17472
	s_waitcnt lgkmcnt(0)
	v_add_f64 v[8:9], v[0:1], -v[4:5]
	v_add_f64 v[11:12], v[2:3], v[6:7]
	v_add_f64 v[2:3], v[2:3], -v[6:7]
	v_add_f64 v[0:1], v[0:1], v[4:5]
	v_mul_f64 v[6:7], v[8:9], 0.5
	v_mul_f64 v[8:9], v[11:12], 0.5
	;; [unrolled: 1-line block ×3, first 2 shown]
	s_waitcnt vmcnt(0)
	v_mul_f64 v[4:5], v[6:7], v[17:18]
	v_fma_f64 v[11:12], v[8:9], v[17:18], v[2:3]
	v_fma_f64 v[13:14], v[8:9], v[17:18], -v[2:3]
	v_fma_f64 v[17:18], v[0:1], 0.5, v[4:5]
	v_fma_f64 v[4:5], v[0:1], 0.5, -v[4:5]
	v_fma_f64 v[2:3], -v[15:16], v[6:7], v[11:12]
	v_fma_f64 v[6:7], -v[15:16], v[6:7], v[13:14]
	v_fma_f64 v[0:1], v[8:9], v[15:16], v[17:18]
	v_fma_f64 v[4:5], -v[8:9], v[15:16], v[4:5]
	ds_write_b128 v162, v[0:3] offset:9984
	ds_write_b128 v10, v[4:7] offset:17472
	s_and_saveexec_b32 s1, s0
	s_cbranch_execz .LBB0_29
; %bb.28:
	v_mov_b32_e32 v49, v50
	v_lshlrev_b64 v[0:1], 4, v[48:49]
	v_add_co_u32 v0, s0, s4, v0
	v_add_co_ci_u32_e64 v1, s0, s5, v1, s0
	global_load_dwordx4 v[0:3], v[0:1], off
	ds_read_b128 v[4:7], v162 offset:12480
	ds_read_b128 v[11:14], v10 offset:14976
	s_waitcnt lgkmcnt(0)
	v_add_f64 v[8:9], v[4:5], -v[11:12]
	v_add_f64 v[15:16], v[6:7], v[13:14]
	v_add_f64 v[6:7], v[6:7], -v[13:14]
	v_add_f64 v[4:5], v[4:5], v[11:12]
	v_mul_f64 v[8:9], v[8:9], 0.5
	v_mul_f64 v[13:14], v[15:16], 0.5
	;; [unrolled: 1-line block ×3, first 2 shown]
	s_waitcnt vmcnt(0)
	v_mul_f64 v[11:12], v[8:9], v[2:3]
	v_fma_f64 v[15:16], v[13:14], v[2:3], v[6:7]
	v_fma_f64 v[2:3], v[13:14], v[2:3], -v[6:7]
	v_fma_f64 v[6:7], v[4:5], 0.5, v[11:12]
	v_fma_f64 v[11:12], v[4:5], 0.5, -v[11:12]
	v_fma_f64 v[4:5], -v[0:1], v[8:9], v[15:16]
	v_fma_f64 v[8:9], -v[0:1], v[8:9], v[2:3]
	v_fma_f64 v[2:3], v[13:14], v[0:1], v[6:7]
	v_fma_f64 v[6:7], -v[13:14], v[0:1], v[11:12]
	ds_write_b128 v162, v[2:5] offset:12480
	ds_write_b128 v10, v[6:9] offset:14976
.LBB0_29:
	s_or_b32 exec_lo, exec_lo, s1
	s_waitcnt lgkmcnt(0)
	s_barrier
	buffer_gl0_inv
	s_and_saveexec_b32 s0, vcc_lo
	s_cbranch_execz .LBB0_32
; %bb.30:
	v_mul_lo_u32 v2, s3, v64
	v_mul_lo_u32 v3, s2, v65
	v_mad_u64_u32 v[0:1], null, s2, v64, 0
	v_mov_b32_e32 v63, 0
	v_lshl_add_u32 v26, v62, 4, 0
	v_lshlrev_b64 v[14:15], 4, v[60:61]
	v_add_nc_u32_e32 v16, 0x9c, v62
	v_add_nc_u32_e32 v18, 0x138, v62
	v_mov_b32_e32 v17, v63
	v_add3_u32 v1, v1, v3, v2
	ds_read_b128 v[2:5], v26
	ds_read_b128 v[6:9], v26 offset:2496
	v_lshlrev_b64 v[20:21], 4, v[62:63]
	v_mov_b32_e32 v19, v63
	ds_read_b128 v[10:13], v26 offset:4992
	v_lshlrev_b64 v[0:1], 4, v[0:1]
	v_add_nc_u32_e32 v24, 0x1d4, v62
	v_mov_b32_e32 v25, v63
	v_lshlrev_b64 v[18:19], 4, v[18:19]
	v_add_co_u32 v0, vcc_lo, s10, v0
	v_add_co_ci_u32_e32 v1, vcc_lo, s11, v1, vcc_lo
	v_add_co_u32 v0, vcc_lo, v0, v14
	v_add_co_ci_u32_e32 v1, vcc_lo, v1, v15, vcc_lo
	v_lshlrev_b64 v[14:15], 4, v[16:17]
	v_add_co_u32 v20, vcc_lo, v0, v20
	v_add_co_ci_u32_e32 v21, vcc_lo, v1, v21, vcc_lo
	v_add_co_u32 v22, vcc_lo, v0, v14
	v_add_co_ci_u32_e32 v23, vcc_lo, v1, v15, vcc_lo
	ds_read_b128 v[14:17], v26 offset:7488
	s_waitcnt lgkmcnt(3)
	global_store_dwordx4 v[20:21], v[2:5], off
	s_waitcnt lgkmcnt(2)
	global_store_dwordx4 v[22:23], v[6:9], off
	v_lshlrev_b64 v[2:3], 4, v[24:25]
	v_add_co_u32 v4, vcc_lo, v0, v18
	v_add_co_ci_u32_e32 v5, vcc_lo, v1, v19, vcc_lo
	v_add_nc_u32_e32 v6, 0x270, v62
	v_add_co_u32 v2, vcc_lo, v0, v2
	v_add_co_ci_u32_e32 v3, vcc_lo, v1, v3, vcc_lo
	v_mov_b32_e32 v7, v63
	s_waitcnt lgkmcnt(1)
	global_store_dwordx4 v[4:5], v[10:13], off
	v_add_nc_u32_e32 v10, 0x30c, v62
	v_mov_b32_e32 v11, v63
	v_add_nc_u32_e32 v18, 0x3a8, v62
	v_mov_b32_e32 v19, v63
	v_add_nc_u32_e32 v20, 0x444, v62
	s_waitcnt lgkmcnt(0)
	global_store_dwordx4 v[2:3], v[14:17], off
	v_lshlrev_b64 v[14:15], 4, v[6:7]
	ds_read_b128 v[2:5], v26 offset:9984
	ds_read_b128 v[6:9], v26 offset:12480
	v_lshlrev_b64 v[16:17], 4, v[10:11]
	ds_read_b128 v[10:13], v26 offset:14976
	v_lshlrev_b64 v[18:19], 4, v[18:19]
	v_mov_b32_e32 v21, v63
	v_add_co_u32 v14, vcc_lo, v0, v14
	v_add_co_ci_u32_e32 v15, vcc_lo, v1, v15, vcc_lo
	v_add_co_u32 v16, vcc_lo, v0, v16
	v_add_co_ci_u32_e32 v17, vcc_lo, v1, v17, vcc_lo
	v_add_co_u32 v18, vcc_lo, v0, v18
	s_waitcnt lgkmcnt(2)
	global_store_dwordx4 v[14:15], v[2:5], off
	s_waitcnt lgkmcnt(1)
	global_store_dwordx4 v[16:17], v[6:9], off
	v_lshlrev_b64 v[6:7], 4, v[20:21]
	v_add_co_ci_u32_e32 v19, vcc_lo, v1, v19, vcc_lo
	v_add_nc_u32_e32 v8, 0x4e0, v62
	v_mov_b32_e32 v9, v63
	v_add_nc_u32_e32 v14, 0x57c, v62
	s_waitcnt lgkmcnt(0)
	global_store_dwordx4 v[18:19], v[10:13], off
	v_mov_b32_e32 v15, v63
	v_add_co_u32 v18, vcc_lo, v0, v6
	ds_read_b128 v[2:5], v26 offset:17472
	v_add_co_ci_u32_e32 v19, vcc_lo, v1, v7, vcc_lo
	v_lshlrev_b64 v[20:21], 4, v[8:9]
	ds_read_b128 v[6:9], v26 offset:19968
	ds_read_b128 v[10:13], v26 offset:22464
	v_add_nc_u32_e32 v24, 0x618, v62
	v_lshlrev_b64 v[22:23], 4, v[14:15]
	ds_read_b128 v[14:17], v26 offset:24960
	v_add_co_u32 v20, vcc_lo, v0, v20
	v_lshlrev_b64 v[24:25], 4, v[24:25]
	v_add_co_ci_u32_e32 v21, vcc_lo, v1, v21, vcc_lo
	v_add_co_u32 v22, vcc_lo, v0, v22
	v_add_co_ci_u32_e32 v23, vcc_lo, v1, v23, vcc_lo
	v_add_co_u32 v24, vcc_lo, v0, v24
	v_add_co_ci_u32_e32 v25, vcc_lo, v1, v25, vcc_lo
	v_cmp_eq_u32_e32 vcc_lo, 0x9b, v62
	s_waitcnt lgkmcnt(3)
	global_store_dwordx4 v[18:19], v[2:5], off
	s_waitcnt lgkmcnt(2)
	global_store_dwordx4 v[20:21], v[6:9], off
	;; [unrolled: 2-line block ×4, first 2 shown]
	s_and_b32 exec_lo, exec_lo, vcc_lo
	s_cbranch_execz .LBB0_32
; %bb.31:
	ds_read_b128 v[2:5], v63 offset:27456
	v_add_co_u32 v0, vcc_lo, 0x6800, v0
	v_add_co_ci_u32_e32 v1, vcc_lo, 0, v1, vcc_lo
	s_waitcnt lgkmcnt(0)
	global_store_dwordx4 v[0:1], v[2:5], off offset:832
.LBB0_32:
	s_endpgm
	.section	.rodata,"a",@progbits
	.p2align	6, 0x0
	.amdhsa_kernel fft_rtc_back_len1716_factors_13_2_6_11_wgs_156_tpt_156_dp_op_CI_CI_unitstride_sbrr_R2C_dirReg
		.amdhsa_group_segment_fixed_size 0
		.amdhsa_private_segment_fixed_size 0
		.amdhsa_kernarg_size 104
		.amdhsa_user_sgpr_count 6
		.amdhsa_user_sgpr_private_segment_buffer 1
		.amdhsa_user_sgpr_dispatch_ptr 0
		.amdhsa_user_sgpr_queue_ptr 0
		.amdhsa_user_sgpr_kernarg_segment_ptr 1
		.amdhsa_user_sgpr_dispatch_id 0
		.amdhsa_user_sgpr_flat_scratch_init 0
		.amdhsa_user_sgpr_private_segment_size 0
		.amdhsa_wavefront_size32 1
		.amdhsa_uses_dynamic_stack 0
		.amdhsa_system_sgpr_private_segment_wavefront_offset 0
		.amdhsa_system_sgpr_workgroup_id_x 1
		.amdhsa_system_sgpr_workgroup_id_y 0
		.amdhsa_system_sgpr_workgroup_id_z 0
		.amdhsa_system_sgpr_workgroup_info 0
		.amdhsa_system_vgpr_workitem_id 0
		.amdhsa_next_free_vgpr 247
		.amdhsa_next_free_sgpr 42
		.amdhsa_reserve_vcc 1
		.amdhsa_reserve_flat_scratch 0
		.amdhsa_float_round_mode_32 0
		.amdhsa_float_round_mode_16_64 0
		.amdhsa_float_denorm_mode_32 3
		.amdhsa_float_denorm_mode_16_64 3
		.amdhsa_dx10_clamp 1
		.amdhsa_ieee_mode 1
		.amdhsa_fp16_overflow 0
		.amdhsa_workgroup_processor_mode 1
		.amdhsa_memory_ordered 1
		.amdhsa_forward_progress 0
		.amdhsa_shared_vgpr_count 0
		.amdhsa_exception_fp_ieee_invalid_op 0
		.amdhsa_exception_fp_denorm_src 0
		.amdhsa_exception_fp_ieee_div_zero 0
		.amdhsa_exception_fp_ieee_overflow 0
		.amdhsa_exception_fp_ieee_underflow 0
		.amdhsa_exception_fp_ieee_inexact 0
		.amdhsa_exception_int_div_zero 0
	.end_amdhsa_kernel
	.text
.Lfunc_end0:
	.size	fft_rtc_back_len1716_factors_13_2_6_11_wgs_156_tpt_156_dp_op_CI_CI_unitstride_sbrr_R2C_dirReg, .Lfunc_end0-fft_rtc_back_len1716_factors_13_2_6_11_wgs_156_tpt_156_dp_op_CI_CI_unitstride_sbrr_R2C_dirReg
                                        ; -- End function
	.section	.AMDGPU.csdata,"",@progbits
; Kernel info:
; codeLenInByte = 13884
; NumSgprs: 44
; NumVgprs: 247
; ScratchSize: 0
; MemoryBound: 0
; FloatMode: 240
; IeeeMode: 1
; LDSByteSize: 0 bytes/workgroup (compile time only)
; SGPRBlocks: 5
; VGPRBlocks: 30
; NumSGPRsForWavesPerEU: 44
; NumVGPRsForWavesPerEU: 247
; Occupancy: 4
; WaveLimiterHint : 1
; COMPUTE_PGM_RSRC2:SCRATCH_EN: 0
; COMPUTE_PGM_RSRC2:USER_SGPR: 6
; COMPUTE_PGM_RSRC2:TRAP_HANDLER: 0
; COMPUTE_PGM_RSRC2:TGID_X_EN: 1
; COMPUTE_PGM_RSRC2:TGID_Y_EN: 0
; COMPUTE_PGM_RSRC2:TGID_Z_EN: 0
; COMPUTE_PGM_RSRC2:TIDIG_COMP_CNT: 0
	.text
	.p2alignl 6, 3214868480
	.fill 48, 4, 3214868480
	.type	__hip_cuid_67792b0a1da8955,@object ; @__hip_cuid_67792b0a1da8955
	.section	.bss,"aw",@nobits
	.globl	__hip_cuid_67792b0a1da8955
__hip_cuid_67792b0a1da8955:
	.byte	0                               ; 0x0
	.size	__hip_cuid_67792b0a1da8955, 1

	.ident	"AMD clang version 19.0.0git (https://github.com/RadeonOpenCompute/llvm-project roc-6.4.0 25133 c7fe45cf4b819c5991fe208aaa96edf142730f1d)"
	.section	".note.GNU-stack","",@progbits
	.addrsig
	.addrsig_sym __hip_cuid_67792b0a1da8955
	.amdgpu_metadata
---
amdhsa.kernels:
  - .args:
      - .actual_access:  read_only
        .address_space:  global
        .offset:         0
        .size:           8
        .value_kind:     global_buffer
      - .offset:         8
        .size:           8
        .value_kind:     by_value
      - .actual_access:  read_only
        .address_space:  global
        .offset:         16
        .size:           8
        .value_kind:     global_buffer
      - .actual_access:  read_only
        .address_space:  global
        .offset:         24
        .size:           8
        .value_kind:     global_buffer
      - .actual_access:  read_only
        .address_space:  global
        .offset:         32
        .size:           8
        .value_kind:     global_buffer
      - .offset:         40
        .size:           8
        .value_kind:     by_value
      - .actual_access:  read_only
        .address_space:  global
        .offset:         48
        .size:           8
        .value_kind:     global_buffer
      - .actual_access:  read_only
        .address_space:  global
        .offset:         56
        .size:           8
        .value_kind:     global_buffer
      - .offset:         64
        .size:           4
        .value_kind:     by_value
      - .actual_access:  read_only
        .address_space:  global
        .offset:         72
        .size:           8
        .value_kind:     global_buffer
      - .actual_access:  read_only
        .address_space:  global
        .offset:         80
        .size:           8
        .value_kind:     global_buffer
      - .actual_access:  read_only
        .address_space:  global
        .offset:         88
        .size:           8
        .value_kind:     global_buffer
      - .actual_access:  write_only
        .address_space:  global
        .offset:         96
        .size:           8
        .value_kind:     global_buffer
    .group_segment_fixed_size: 0
    .kernarg_segment_align: 8
    .kernarg_segment_size: 104
    .language:       OpenCL C
    .language_version:
      - 2
      - 0
    .max_flat_workgroup_size: 156
    .name:           fft_rtc_back_len1716_factors_13_2_6_11_wgs_156_tpt_156_dp_op_CI_CI_unitstride_sbrr_R2C_dirReg
    .private_segment_fixed_size: 0
    .sgpr_count:     44
    .sgpr_spill_count: 0
    .symbol:         fft_rtc_back_len1716_factors_13_2_6_11_wgs_156_tpt_156_dp_op_CI_CI_unitstride_sbrr_R2C_dirReg.kd
    .uniform_work_group_size: 1
    .uses_dynamic_stack: false
    .vgpr_count:     247
    .vgpr_spill_count: 0
    .wavefront_size: 32
    .workgroup_processor_mode: 1
amdhsa.target:   amdgcn-amd-amdhsa--gfx1030
amdhsa.version:
  - 1
  - 2
...

	.end_amdgpu_metadata
